;; amdgpu-corpus repo=ROCm/rocFFT kind=compiled arch=gfx906 opt=O3
	.text
	.amdgcn_target "amdgcn-amd-amdhsa--gfx906"
	.amdhsa_code_object_version 6
	.protected	fft_rtc_fwd_len1904_factors_17_2_2_7_4_wgs_119_tpt_119_halfLds_sp_ip_CI_sbrr_dirReg ; -- Begin function fft_rtc_fwd_len1904_factors_17_2_2_7_4_wgs_119_tpt_119_halfLds_sp_ip_CI_sbrr_dirReg
	.globl	fft_rtc_fwd_len1904_factors_17_2_2_7_4_wgs_119_tpt_119_halfLds_sp_ip_CI_sbrr_dirReg
	.p2align	8
	.type	fft_rtc_fwd_len1904_factors_17_2_2_7_4_wgs_119_tpt_119_halfLds_sp_ip_CI_sbrr_dirReg,@function
fft_rtc_fwd_len1904_factors_17_2_2_7_4_wgs_119_tpt_119_halfLds_sp_ip_CI_sbrr_dirReg: ; @fft_rtc_fwd_len1904_factors_17_2_2_7_4_wgs_119_tpt_119_halfLds_sp_ip_CI_sbrr_dirReg
; %bb.0:
	s_load_dwordx2 s[2:3], s[4:5], 0x18
	s_load_dwordx4 s[8:11], s[4:5], 0x0
	s_load_dwordx2 s[14:15], s[4:5], 0x50
	v_mul_u32_u24_e32 v1, 0x227, v0
	v_add_u32_sdwa v5, s6, v1 dst_sel:DWORD dst_unused:UNUSED_PAD src0_sel:DWORD src1_sel:WORD_1
	s_waitcnt lgkmcnt(0)
	s_load_dwordx2 s[12:13], s[2:3], 0x0
	v_cmp_lt_u64_e64 s[0:1], s[10:11], 2
	v_mov_b32_e32 v3, 0
	v_mov_b32_e32 v1, 0
	;; [unrolled: 1-line block ×3, first 2 shown]
	s_and_b64 vcc, exec, s[0:1]
	v_mov_b32_e32 v2, 0
	s_cbranch_vccnz .LBB0_8
; %bb.1:
	s_load_dwordx2 s[0:1], s[4:5], 0x10
	s_add_u32 s6, s2, 8
	s_addc_u32 s7, s3, 0
	v_mov_b32_e32 v1, 0
	v_mov_b32_e32 v2, 0
	s_waitcnt lgkmcnt(0)
	s_add_u32 s16, s0, 8
	s_addc_u32 s17, s1, 0
	s_mov_b64 s[18:19], 1
.LBB0_2:                                ; =>This Inner Loop Header: Depth=1
	s_load_dwordx2 s[20:21], s[16:17], 0x0
                                        ; implicit-def: $vgpr7_vgpr8
	s_waitcnt lgkmcnt(0)
	v_or_b32_e32 v4, s21, v6
	v_cmp_ne_u64_e32 vcc, 0, v[3:4]
	s_and_saveexec_b64 s[0:1], vcc
	s_xor_b64 s[22:23], exec, s[0:1]
	s_cbranch_execz .LBB0_4
; %bb.3:                                ;   in Loop: Header=BB0_2 Depth=1
	v_cvt_f32_u32_e32 v4, s20
	v_cvt_f32_u32_e32 v7, s21
	s_sub_u32 s0, 0, s20
	s_subb_u32 s1, 0, s21
	v_mac_f32_e32 v4, 0x4f800000, v7
	v_rcp_f32_e32 v4, v4
	v_mul_f32_e32 v4, 0x5f7ffffc, v4
	v_mul_f32_e32 v7, 0x2f800000, v4
	v_trunc_f32_e32 v7, v7
	v_mac_f32_e32 v4, 0xcf800000, v7
	v_cvt_u32_f32_e32 v7, v7
	v_cvt_u32_f32_e32 v4, v4
	v_mul_lo_u32 v8, s0, v7
	v_mul_hi_u32 v9, s0, v4
	v_mul_lo_u32 v11, s1, v4
	v_mul_lo_u32 v10, s0, v4
	v_add_u32_e32 v8, v9, v8
	v_add_u32_e32 v8, v8, v11
	v_mul_hi_u32 v9, v4, v10
	v_mul_lo_u32 v11, v4, v8
	v_mul_hi_u32 v13, v4, v8
	v_mul_hi_u32 v12, v7, v10
	v_mul_lo_u32 v10, v7, v10
	v_mul_hi_u32 v14, v7, v8
	v_add_co_u32_e32 v9, vcc, v9, v11
	v_addc_co_u32_e32 v11, vcc, 0, v13, vcc
	v_mul_lo_u32 v8, v7, v8
	v_add_co_u32_e32 v9, vcc, v9, v10
	v_addc_co_u32_e32 v9, vcc, v11, v12, vcc
	v_addc_co_u32_e32 v10, vcc, 0, v14, vcc
	v_add_co_u32_e32 v8, vcc, v9, v8
	v_addc_co_u32_e32 v9, vcc, 0, v10, vcc
	v_add_co_u32_e32 v4, vcc, v4, v8
	v_addc_co_u32_e32 v7, vcc, v7, v9, vcc
	v_mul_lo_u32 v8, s0, v7
	v_mul_hi_u32 v9, s0, v4
	v_mul_lo_u32 v10, s1, v4
	v_mul_lo_u32 v11, s0, v4
	v_add_u32_e32 v8, v9, v8
	v_add_u32_e32 v8, v8, v10
	v_mul_lo_u32 v12, v4, v8
	v_mul_hi_u32 v13, v4, v11
	v_mul_hi_u32 v14, v4, v8
	;; [unrolled: 1-line block ×3, first 2 shown]
	v_mul_lo_u32 v11, v7, v11
	v_mul_hi_u32 v9, v7, v8
	v_add_co_u32_e32 v12, vcc, v13, v12
	v_addc_co_u32_e32 v13, vcc, 0, v14, vcc
	v_mul_lo_u32 v8, v7, v8
	v_add_co_u32_e32 v11, vcc, v12, v11
	v_addc_co_u32_e32 v10, vcc, v13, v10, vcc
	v_addc_co_u32_e32 v9, vcc, 0, v9, vcc
	v_add_co_u32_e32 v8, vcc, v10, v8
	v_addc_co_u32_e32 v9, vcc, 0, v9, vcc
	v_add_co_u32_e32 v4, vcc, v4, v8
	v_addc_co_u32_e32 v9, vcc, v7, v9, vcc
	v_mad_u64_u32 v[7:8], s[0:1], v5, v9, 0
	v_mul_hi_u32 v10, v5, v4
	v_add_co_u32_e32 v11, vcc, v10, v7
	v_addc_co_u32_e32 v12, vcc, 0, v8, vcc
	v_mad_u64_u32 v[7:8], s[0:1], v6, v4, 0
	v_mad_u64_u32 v[9:10], s[0:1], v6, v9, 0
	v_add_co_u32_e32 v4, vcc, v11, v7
	v_addc_co_u32_e32 v4, vcc, v12, v8, vcc
	v_addc_co_u32_e32 v7, vcc, 0, v10, vcc
	v_add_co_u32_e32 v4, vcc, v4, v9
	v_addc_co_u32_e32 v9, vcc, 0, v7, vcc
	v_mul_lo_u32 v10, s21, v4
	v_mul_lo_u32 v11, s20, v9
	v_mad_u64_u32 v[7:8], s[0:1], s20, v4, 0
	v_add3_u32 v8, v8, v11, v10
	v_sub_u32_e32 v10, v6, v8
	v_mov_b32_e32 v11, s21
	v_sub_co_u32_e32 v7, vcc, v5, v7
	v_subb_co_u32_e64 v10, s[0:1], v10, v11, vcc
	v_subrev_co_u32_e64 v11, s[0:1], s20, v7
	v_subbrev_co_u32_e64 v10, s[0:1], 0, v10, s[0:1]
	v_cmp_le_u32_e64 s[0:1], s21, v10
	v_cndmask_b32_e64 v12, 0, -1, s[0:1]
	v_cmp_le_u32_e64 s[0:1], s20, v11
	v_cndmask_b32_e64 v11, 0, -1, s[0:1]
	v_cmp_eq_u32_e64 s[0:1], s21, v10
	v_cndmask_b32_e64 v10, v12, v11, s[0:1]
	v_add_co_u32_e64 v11, s[0:1], 2, v4
	v_addc_co_u32_e64 v12, s[0:1], 0, v9, s[0:1]
	v_add_co_u32_e64 v13, s[0:1], 1, v4
	v_addc_co_u32_e64 v14, s[0:1], 0, v9, s[0:1]
	v_subb_co_u32_e32 v8, vcc, v6, v8, vcc
	v_cmp_ne_u32_e64 s[0:1], 0, v10
	v_cmp_le_u32_e32 vcc, s21, v8
	v_cndmask_b32_e64 v10, v14, v12, s[0:1]
	v_cndmask_b32_e64 v12, 0, -1, vcc
	v_cmp_le_u32_e32 vcc, s20, v7
	v_cndmask_b32_e64 v7, 0, -1, vcc
	v_cmp_eq_u32_e32 vcc, s21, v8
	v_cndmask_b32_e32 v7, v12, v7, vcc
	v_cmp_ne_u32_e32 vcc, 0, v7
	v_cndmask_b32_e64 v7, v13, v11, s[0:1]
	v_cndmask_b32_e32 v8, v9, v10, vcc
	v_cndmask_b32_e32 v7, v4, v7, vcc
.LBB0_4:                                ;   in Loop: Header=BB0_2 Depth=1
	s_andn2_saveexec_b64 s[0:1], s[22:23]
	s_cbranch_execz .LBB0_6
; %bb.5:                                ;   in Loop: Header=BB0_2 Depth=1
	v_cvt_f32_u32_e32 v4, s20
	s_sub_i32 s22, 0, s20
	v_rcp_iflag_f32_e32 v4, v4
	v_mul_f32_e32 v4, 0x4f7ffffe, v4
	v_cvt_u32_f32_e32 v4, v4
	v_mul_lo_u32 v7, s22, v4
	v_mul_hi_u32 v7, v4, v7
	v_add_u32_e32 v4, v4, v7
	v_mul_hi_u32 v4, v5, v4
	v_mul_lo_u32 v7, v4, s20
	v_add_u32_e32 v8, 1, v4
	v_sub_u32_e32 v7, v5, v7
	v_subrev_u32_e32 v9, s20, v7
	v_cmp_le_u32_e32 vcc, s20, v7
	v_cndmask_b32_e32 v7, v7, v9, vcc
	v_cndmask_b32_e32 v4, v4, v8, vcc
	v_add_u32_e32 v8, 1, v4
	v_cmp_le_u32_e32 vcc, s20, v7
	v_cndmask_b32_e32 v7, v4, v8, vcc
	v_mov_b32_e32 v8, v3
.LBB0_6:                                ;   in Loop: Header=BB0_2 Depth=1
	s_or_b64 exec, exec, s[0:1]
	v_mul_lo_u32 v4, v8, s20
	v_mul_lo_u32 v11, v7, s21
	v_mad_u64_u32 v[9:10], s[0:1], v7, s20, 0
	s_load_dwordx2 s[0:1], s[6:7], 0x0
	s_add_u32 s18, s18, 1
	v_add3_u32 v4, v10, v11, v4
	v_sub_co_u32_e32 v5, vcc, v5, v9
	v_subb_co_u32_e32 v4, vcc, v6, v4, vcc
	s_waitcnt lgkmcnt(0)
	v_mul_lo_u32 v4, s0, v4
	v_mul_lo_u32 v6, s1, v5
	v_mad_u64_u32 v[1:2], s[0:1], s0, v5, v[1:2]
	s_addc_u32 s19, s19, 0
	s_add_u32 s6, s6, 8
	v_add3_u32 v2, v6, v2, v4
	v_mov_b32_e32 v4, s10
	v_mov_b32_e32 v5, s11
	s_addc_u32 s7, s7, 0
	v_cmp_ge_u64_e32 vcc, s[18:19], v[4:5]
	s_add_u32 s16, s16, 8
	s_addc_u32 s17, s17, 0
	s_cbranch_vccnz .LBB0_9
; %bb.7:                                ;   in Loop: Header=BB0_2 Depth=1
	v_mov_b32_e32 v5, v7
	v_mov_b32_e32 v6, v8
	s_branch .LBB0_2
.LBB0_8:
	v_mov_b32_e32 v8, v6
	v_mov_b32_e32 v7, v5
.LBB0_9:
	s_lshl_b64 s[0:1], s[10:11], 3
	s_add_u32 s0, s2, s0
	s_addc_u32 s1, s3, s1
	s_load_dwordx2 s[2:3], s[0:1], 0x0
	s_load_dwordx2 s[6:7], s[4:5], 0x20
                                        ; implicit-def: $vgpr9
                                        ; implicit-def: $vgpr11
                                        ; implicit-def: $vgpr13
                                        ; implicit-def: $vgpr15
                                        ; implicit-def: $vgpr17
                                        ; implicit-def: $vgpr19
                                        ; implicit-def: $vgpr21
                                        ; implicit-def: $vgpr23
                                        ; implicit-def: $vgpr25
                                        ; implicit-def: $vgpr27
                                        ; implicit-def: $vgpr29
                                        ; implicit-def: $vgpr31
                                        ; implicit-def: $vgpr33
                                        ; implicit-def: $vgpr35
	s_waitcnt lgkmcnt(0)
	v_mad_u64_u32 v[1:2], s[0:1], s2, v7, v[1:2]
	s_mov_b32 s0, 0x226b903
	v_mul_lo_u32 v3, s2, v8
	v_mul_lo_u32 v4, s3, v7
	v_mul_hi_u32 v5, v0, s0
	v_cmp_gt_u64_e32 vcc, s[6:7], v[7:8]
	s_movk_i32 s0, 0x70
	v_add3_u32 v2, v4, v2, v3
	v_mul_u32_u24_e32 v3, 0x77, v5
	v_sub_u32_e32 v56, v0, v3
	v_cmp_gt_u32_e64 s[0:1], s0, v56
	v_lshlrev_b64 v[0:1], 3, v[1:2]
	s_and_b64 s[2:3], vcc, s[0:1]
	v_mov_b32_e32 v3, 0
	v_mov_b32_e32 v2, 0
                                        ; implicit-def: $vgpr5
                                        ; implicit-def: $vgpr7
	s_and_saveexec_b64 s[4:5], s[2:3]
	s_cbranch_execz .LBB0_11
; %bb.10:
	v_mad_u64_u32 v[2:3], s[2:3], s12, v56, 0
	v_add_u32_e32 v7, 0x70, v56
	v_mov_b32_e32 v6, s15
	v_mad_u64_u32 v[3:4], s[2:3], s13, v56, v[3:4]
	v_mad_u64_u32 v[4:5], s[2:3], s12, v7, 0
	v_add_co_u32_e64 v10, s[2:3], s14, v0
	v_addc_co_u32_e64 v11, s[2:3], v6, v1, s[2:3]
	v_mad_u64_u32 v[5:6], s[2:3], s13, v7, v[5:6]
	v_add_u32_e32 v8, 0xe0, v56
	v_mad_u64_u32 v[6:7], s[2:3], s12, v8, 0
	v_lshlrev_b64 v[2:3], 3, v[2:3]
	v_add_co_u32_e64 v32, s[2:3], v10, v2
	v_addc_co_u32_e64 v33, s[2:3], v11, v3, s[2:3]
	v_lshlrev_b64 v[2:3], 3, v[4:5]
	v_mov_b32_e32 v4, v7
	v_mad_u64_u32 v[4:5], s[2:3], s13, v8, v[4:5]
	v_add_u32_e32 v5, 0x150, v56
	v_mad_u64_u32 v[8:9], s[2:3], s12, v5, 0
	v_add_co_u32_e64 v34, s[2:3], v10, v2
	v_mov_b32_e32 v7, v4
	v_mov_b32_e32 v4, v9
	v_addc_co_u32_e64 v35, s[2:3], v11, v3, s[2:3]
	v_lshlrev_b64 v[2:3], 3, v[6:7]
	v_mad_u64_u32 v[4:5], s[2:3], s13, v5, v[4:5]
	v_add_u32_e32 v7, 0x1c0, v56
	v_mad_u64_u32 v[5:6], s[2:3], s12, v7, 0
	v_add_co_u32_e64 v36, s[2:3], v10, v2
	v_mov_b32_e32 v9, v4
	v_mov_b32_e32 v4, v6
	v_addc_co_u32_e64 v37, s[2:3], v11, v3, s[2:3]
	v_lshlrev_b64 v[2:3], 3, v[8:9]
	v_mad_u64_u32 v[6:7], s[2:3], s13, v7, v[4:5]
	v_add_u32_e32 v9, 0x230, v56
	v_mad_u64_u32 v[7:8], s[2:3], s12, v9, 0
	v_add_co_u32_e64 v38, s[2:3], v10, v2
	v_mov_b32_e32 v4, v8
	v_addc_co_u32_e64 v39, s[2:3], v11, v3, s[2:3]
	v_lshlrev_b64 v[2:3], 3, v[5:6]
	v_mad_u64_u32 v[4:5], s[2:3], s13, v9, v[4:5]
	v_add_u32_e32 v9, 0x2a0, v56
	v_mad_u64_u32 v[5:6], s[2:3], s12, v9, 0
	v_add_co_u32_e64 v40, s[2:3], v10, v2
	v_mov_b32_e32 v8, v4
	v_mov_b32_e32 v4, v6
	v_addc_co_u32_e64 v41, s[2:3], v11, v3, s[2:3]
	v_lshlrev_b64 v[2:3], 3, v[7:8]
	v_mad_u64_u32 v[6:7], s[2:3], s13, v9, v[4:5]
	v_add_u32_e32 v9, 0x310, v56
	v_mad_u64_u32 v[7:8], s[2:3], s12, v9, 0
	v_add_co_u32_e64 v42, s[2:3], v10, v2
	v_mov_b32_e32 v4, v8
	v_addc_co_u32_e64 v43, s[2:3], v11, v3, s[2:3]
	v_lshlrev_b64 v[2:3], 3, v[5:6]
	v_mad_u64_u32 v[4:5], s[2:3], s13, v9, v[4:5]
	v_or_b32_e32 v9, 0x380, v56
	v_mad_u64_u32 v[5:6], s[2:3], s12, v9, 0
	v_add_co_u32_e64 v44, s[2:3], v10, v2
	v_mov_b32_e32 v8, v4
	v_mov_b32_e32 v4, v6
	v_addc_co_u32_e64 v45, s[2:3], v11, v3, s[2:3]
	v_lshlrev_b64 v[2:3], 3, v[7:8]
	v_mad_u64_u32 v[6:7], s[2:3], s13, v9, v[4:5]
	v_add_u32_e32 v9, 0x3f0, v56
	v_mad_u64_u32 v[7:8], s[2:3], s12, v9, 0
	v_add_co_u32_e64 v46, s[2:3], v10, v2
	v_mov_b32_e32 v4, v8
	v_addc_co_u32_e64 v47, s[2:3], v11, v3, s[2:3]
	v_lshlrev_b64 v[2:3], 3, v[5:6]
	v_mad_u64_u32 v[4:5], s[2:3], s13, v9, v[4:5]
	v_add_u32_e32 v9, 0x460, v56
	v_mad_u64_u32 v[5:6], s[2:3], s12, v9, 0
	v_add_co_u32_e64 v48, s[2:3], v10, v2
	v_mov_b32_e32 v8, v4
	v_mov_b32_e32 v4, v6
	v_addc_co_u32_e64 v49, s[2:3], v11, v3, s[2:3]
	v_lshlrev_b64 v[2:3], 3, v[7:8]
	v_mad_u64_u32 v[6:7], s[2:3], s13, v9, v[4:5]
	v_add_u32_e32 v9, 0x4d0, v56
	v_mad_u64_u32 v[7:8], s[2:3], s12, v9, 0
	v_add_co_u32_e64 v50, s[2:3], v10, v2
	v_mov_b32_e32 v4, v8
	v_addc_co_u32_e64 v51, s[2:3], v11, v3, s[2:3]
	v_lshlrev_b64 v[2:3], 3, v[5:6]
	v_mad_u64_u32 v[4:5], s[2:3], s13, v9, v[4:5]
	v_add_u32_e32 v9, 0x540, v56
	;; [unrolled: 15-line block ×3, first 2 shown]
	v_mad_u64_u32 v[5:6], s[2:3], s12, v9, 0
	v_add_co_u32_e64 v57, s[2:3], v10, v2
	v_mov_b32_e32 v8, v4
	v_mov_b32_e32 v4, v6
	v_addc_co_u32_e64 v58, s[2:3], v11, v3, s[2:3]
	v_lshlrev_b64 v[2:3], 3, v[7:8]
	v_mad_u64_u32 v[6:7], s[2:3], s13, v9, v[4:5]
	v_add_u32_e32 v9, 0x690, v56
	v_mad_u64_u32 v[7:8], s[2:3], s12, v9, 0
	v_add_co_u32_e64 v59, s[2:3], v10, v2
	v_mov_b32_e32 v4, v8
	v_addc_co_u32_e64 v60, s[2:3], v11, v3, s[2:3]
	v_lshlrev_b64 v[2:3], 3, v[5:6]
	v_mad_u64_u32 v[4:5], s[2:3], s13, v9, v[4:5]
	v_or_b32_e32 v9, 0x700, v56
	v_mad_u64_u32 v[5:6], s[2:3], s12, v9, 0
	v_add_co_u32_e64 v61, s[2:3], v10, v2
	v_mov_b32_e32 v8, v4
	v_mov_b32_e32 v4, v6
	v_addc_co_u32_e64 v62, s[2:3], v11, v3, s[2:3]
	v_lshlrev_b64 v[2:3], 3, v[7:8]
	v_mad_u64_u32 v[6:7], s[2:3], s13, v9, v[4:5]
	v_add_co_u32_e64 v63, s[2:3], v10, v2
	v_addc_co_u32_e64 v64, s[2:3], v11, v3, s[2:3]
	v_lshlrev_b64 v[2:3], 3, v[5:6]
	v_add_co_u32_e64 v65, s[2:3], v10, v2
	v_addc_co_u32_e64 v66, s[2:3], v11, v3, s[2:3]
	global_load_dwordx2 v[2:3], v[32:33], off
	global_load_dwordx2 v[4:5], v[34:35], off
	;; [unrolled: 1-line block ×15, first 2 shown]
                                        ; kill: killed $vgpr61 killed $vgpr62
                                        ; kill: killed $vgpr50 killed $vgpr51
                                        ; kill: killed $vgpr40 killed $vgpr41
                                        ; kill: killed $vgpr54 killed $vgpr55
                                        ; kill: killed $vgpr44 killed $vgpr45
                                        ; kill: killed $vgpr34 killed $vgpr35
                                        ; kill: killed $vgpr59 killed $vgpr60
                                        ; kill: killed $vgpr48 killed $vgpr49
                                        ; kill: killed $vgpr38 killed $vgpr39
                                        ; kill: killed $vgpr52 killed $vgpr53
                                        ; kill: killed $vgpr42 killed $vgpr43
                                        ; kill: killed $vgpr32 killed $vgpr33
                                        ; kill: killed $vgpr57 killed $vgpr58
                                        ; kill: killed $vgpr46 killed $vgpr47
                                        ; kill: killed $vgpr36 killed $vgpr37
	global_load_dwordx2 v[32:33], v[63:64], off
	global_load_dwordx2 v[34:35], v[65:66], off
.LBB0_11:
	s_or_b64 exec, exec, s[4:5]
	s_waitcnt vmcnt(0)
	v_add_f32_e32 v45, v4, v34
	v_mul_f32_e32 v37, 0x3f6eb680, v45
	v_sub_f32_e32 v36, v5, v35
	v_mov_b32_e32 v38, v37
	v_add_f32_e32 v48, v6, v32
	v_fmac_f32_e32 v38, 0xbeb8f4ab, v36
	v_mul_f32_e32 v39, 0x3f3d2fb0, v48
	v_add_f32_e32 v40, v2, v38
	v_sub_f32_e32 v38, v7, v33
	v_mov_b32_e32 v41, v39
	v_fmac_f32_e32 v41, 0xbf2c7751, v38
	v_add_f32_e32 v51, v8, v30
	v_add_f32_e32 v42, v41, v40
	v_mul_f32_e32 v41, 0x3ee437d1, v51
	v_sub_f32_e32 v40, v9, v31
	v_mov_b32_e32 v43, v41
	v_fmac_f32_e32 v43, 0xbf65296c, v40
	v_add_f32_e32 v54, v10, v28
	v_add_f32_e32 v44, v43, v42
	v_mul_f32_e32 v43, 0x3dbcf732, v54
	;; [unrolled: 6-line block ×6, first 2 shown]
	v_sub_f32_e32 v55, v19, v21
	v_mov_b32_e32 v62, v53
	v_fmac_f32_e32 v62, 0xbe3c28d5, v55
	v_add_f32_e32 v59, v62, v59
	s_mov_b32 s17, 0x3f6eb680
	s_mov_b32 s16, 0x3f3d2fb0
	s_mov_b32 s11, 0x3ee437d1
	s_mov_b32 s10, 0x3dbcf732
	s_mov_b32 s7, 0xbe8c1d8e
	s_mov_b32 s6, 0xbf1a4643
	s_mov_b32 s5, 0xbf59a7d5
	s_mov_b32 s4, 0xbf7ba420
	s_and_saveexec_b64 s[2:3], s[0:1]
	s_cbranch_execz .LBB0_13
; %bb.12:
	v_mul_f32_e32 v62, 0xbe3c28d5, v36
	v_mov_b32_e32 v63, v62
	v_mul_f32_e32 v64, 0x3eb8f4ab, v38
	v_fmac_f32_e32 v63, 0xbf7ba420, v45
	v_mov_b32_e32 v65, v64
	v_add_f32_e32 v63, v2, v63
	v_fmac_f32_e32 v65, 0x3f6eb680, v48
	v_add_f32_e32 v63, v65, v63
	v_mul_f32_e32 v65, 0xbf06c442, v40
	v_mov_b32_e32 v66, v65
	v_fmac_f32_e32 v66, 0xbf59a7d5, v51
	v_add_f32_e32 v63, v66, v63
	v_mul_f32_e32 v66, 0x3f2c7751, v42
	v_mov_b32_e32 v67, v66
	;; [unrolled: 4-line block ×3, first 2 shown]
	v_fmac_f32_e32 v68, 0xbf1a4643, v57
	v_add_f32_e32 v63, v68, v63
	v_mul_f32_e32 v68, 0x3f65296c, v49
	v_fma_f32 v62, v45, s4, -v62
	v_mov_b32_e32 v69, v68
	v_add_f32_e32 v62, v2, v62
	v_fma_f32 v64, v48, s17, -v64
	v_fmac_f32_e32 v69, 0x3ee437d1, v58
	v_add_f32_e32 v62, v64, v62
	v_fma_f32 v64, v51, s5, -v65
	v_add_f32_e32 v63, v69, v63
	v_mul_f32_e32 v69, 0xbf763a35, v52
	v_add_f32_e32 v62, v64, v62
	v_fma_f32 v64, v54, s16, -v66
	v_mov_b32_e32 v70, v69
	v_add_f32_e32 v62, v64, v62
	v_fma_f32 v64, v57, s6, -v67
	v_fmac_f32_e32 v70, 0xbe8c1d8e, v60
	v_add_f32_e32 v62, v64, v62
	v_fma_f32 v64, v58, s11, -v68
	v_add_f32_e32 v63, v70, v63
	v_mul_f32_e32 v70, 0x3f7ee86f, v55
	v_add_f32_e32 v62, v64, v62
	v_fma_f32 v64, v60, s7, -v69
	v_add_f32_e32 v62, v64, v62
	v_fma_f32 v64, v61, s10, -v70
	v_add_f32_e32 v62, v64, v62
	v_mul_f32_e32 v64, 0xbf06c442, v36
	v_mov_b32_e32 v65, v64
	v_mul_f32_e32 v66, 0x3f65296c, v38
	v_fmac_f32_e32 v65, 0xbf59a7d5, v45
	v_mov_b32_e32 v67, v66
	v_add_f32_e32 v65, v2, v65
	v_fmac_f32_e32 v67, 0x3ee437d1, v48
	v_add_f32_e32 v65, v67, v65
	v_mul_f32_e32 v67, 0xbf7ee86f, v40
	v_mov_b32_e32 v68, v67
	v_fmac_f32_e32 v68, 0x3dbcf732, v51
	v_add_f32_e32 v65, v68, v65
	v_mul_f32_e32 v68, 0x3f4c4adb, v42
	v_mov_b32_e32 v69, v68
	v_fmac_f32_e32 v69, 0xbf1a4643, v54
	v_add_f32_e32 v65, v69, v65
	v_mul_f32_e32 v69, 0xbeb8f4ab, v46
	v_mov_b32_e32 v71, v70
	v_mov_b32_e32 v70, v69
	v_fmac_f32_e32 v70, 0x3f6eb680, v57
	v_fmac_f32_e32 v71, 0x3dbcf732, v61
	v_add_f32_e32 v65, v70, v65
	v_mul_f32_e32 v70, 0xbe3c28d5, v49
	v_fma_f32 v64, v45, s5, -v64
	v_add_f32_e32 v63, v71, v63
	v_mov_b32_e32 v71, v70
	v_add_f32_e32 v64, v2, v64
	v_fma_f32 v66, v48, s11, -v66
	v_fmac_f32_e32 v71, 0xbf7ba420, v58
	v_add_f32_e32 v64, v66, v64
	v_fma_f32 v66, v51, s10, -v67
	v_add_f32_e32 v65, v71, v65
	v_mul_f32_e32 v71, 0x3f2c7751, v52
	v_add_f32_e32 v64, v66, v64
	v_fma_f32 v66, v54, s6, -v68
	v_mov_b32_e32 v72, v71
	v_add_f32_e32 v64, v66, v64
	v_fma_f32 v66, v57, s17, -v69
	v_fmac_f32_e32 v72, 0x3f3d2fb0, v60
	v_add_f32_e32 v64, v66, v64
	v_fma_f32 v66, v58, s4, -v70
	v_add_f32_e32 v65, v72, v65
	v_mul_f32_e32 v72, 0xbf763a35, v55
	v_add_f32_e32 v64, v66, v64
	v_fma_f32 v66, v60, s16, -v71
	v_add_f32_e32 v64, v66, v64
	v_fma_f32 v66, v61, s7, -v72
	v_add_f32_e32 v64, v66, v64
	v_mul_f32_e32 v66, 0xbf4c4adb, v36
	v_mov_b32_e32 v67, v66
	v_mul_f32_e32 v68, 0x3f763a35, v38
	v_fmac_f32_e32 v67, 0xbf1a4643, v45
	v_mov_b32_e32 v69, v68
	v_add_f32_e32 v67, v2, v67
	v_fmac_f32_e32 v69, 0xbe8c1d8e, v48
	v_add_f32_e32 v67, v69, v67
	v_mul_f32_e32 v69, 0xbeb8f4ab, v40
	v_mov_b32_e32 v70, v69
	v_fmac_f32_e32 v70, 0x3f6eb680, v51
	v_add_f32_e32 v67, v70, v67
	v_mul_f32_e32 v70, 0xbf06c442, v42
	v_mov_b32_e32 v71, v70
	v_fmac_f32_e32 v71, 0xbf59a7d5, v54
	v_add_f32_e32 v67, v71, v67
	v_mul_f32_e32 v71, 0x3f7ee86f, v46
	v_mov_b32_e32 v73, v72
	v_mov_b32_e32 v72, v71
	v_fmac_f32_e32 v72, 0x3dbcf732, v57
	v_fmac_f32_e32 v73, 0xbe8c1d8e, v61
	v_add_f32_e32 v67, v72, v67
	v_mul_f32_e32 v72, 0xbf2c7751, v49
	v_fma_f32 v66, v45, s6, -v66
	v_add_f32_e32 v65, v73, v65
	;; [unrolled: 48-line block ×5, first 2 shown]
	v_mov_b32_e32 v79, v78
	v_add_f32_e32 v72, v2, v72
	v_fma_f32 v74, v48, s6, -v74
	v_fmac_f32_e32 v79, 0x3f6eb680, v58
	v_add_f32_e32 v72, v74, v72
	v_fma_f32 v74, v51, s4, -v75
	v_add_f32_e32 v73, v79, v73
	v_mul_f32_e32 v79, 0xbf7ee86f, v52
	v_add_f32_e32 v72, v74, v72
	v_fma_f32 v74, v54, s7, -v76
	v_mov_b32_e32 v80, v79
	v_add_f32_e32 v72, v74, v72
	v_fma_f32 v74, v57, s16, -v77
	v_fmac_f32_e32 v80, 0x3dbcf732, v60
	v_add_f32_e32 v72, v74, v72
	v_fma_f32 v74, v58, s17, -v78
	v_add_f32_e32 v73, v80, v73
	v_mul_f32_e32 v80, 0xbf06c442, v55
	v_add_f32_e32 v72, v74, v72
	v_fma_f32 v74, v60, s10, -v79
	v_add_f32_e32 v72, v74, v72
	v_fma_f32 v74, v61, s5, -v80
	v_add_f32_e32 v72, v74, v72
	v_mul_f32_e32 v74, 0xbf2c7751, v36
	v_mov_b32_e32 v75, v74
	v_mul_f32_e32 v76, 0xbf7ee86f, v38
	v_fmac_f32_e32 v75, 0x3f3d2fb0, v45
	v_mov_b32_e32 v77, v76
	v_add_f32_e32 v75, v2, v75
	v_fmac_f32_e32 v77, 0x3dbcf732, v48
	v_add_f32_e32 v75, v77, v75
	v_mul_f32_e32 v77, 0xbf4c4adb, v40
	v_mul_f32_e32 v36, 0xbeb8f4ab, v36
	v_mov_b32_e32 v78, v77
	v_fma_f32 v45, v45, s16, -v74
	v_sub_f32_e32 v36, v37, v36
	v_fmac_f32_e32 v78, 0xbf1a4643, v51
	v_add_f32_e32 v45, v2, v45
	v_add_f32_e32 v36, v2, v36
	;; [unrolled: 1-line block ×4, first 2 shown]
	v_mul_f32_e32 v78, 0xbe3c28d5, v42
	v_add_f32_e32 v2, v2, v6
	v_mov_b32_e32 v79, v78
	v_add_f32_e32 v2, v2, v8
	v_fmac_f32_e32 v79, 0xbf7ba420, v54
	v_add_f32_e32 v2, v2, v10
	v_add_f32_e32 v75, v79, v75
	v_mul_f32_e32 v79, 0x3f06c442, v46
	v_add_f32_e32 v2, v2, v12
	v_mov_b32_e32 v81, v80
	v_mov_b32_e32 v80, v79
	v_mul_f32_e32 v37, 0xbf2c7751, v38
	v_add_f32_e32 v2, v2, v14
	v_fmac_f32_e32 v80, 0xbf59a7d5, v57
	v_sub_f32_e32 v37, v39, v37
	v_add_f32_e32 v2, v2, v16
	v_fmac_f32_e32 v81, 0xbf59a7d5, v61
	v_add_f32_e32 v75, v80, v75
	v_mul_f32_e32 v80, 0x3f763a35, v49
	v_add_f32_e32 v36, v37, v36
	v_mul_f32_e32 v37, 0xbf65296c, v40
	v_add_f32_e32 v2, v2, v18
	v_add_f32_e32 v73, v81, v73
	v_mov_b32_e32 v81, v80
	v_sub_f32_e32 v37, v41, v37
	v_add_f32_e32 v2, v2, v20
	v_fmac_f32_e32 v81, 0xbe8c1d8e, v58
	v_fma_f32 v48, v48, s10, -v76
	v_add_f32_e32 v36, v37, v36
	v_mul_f32_e32 v37, 0xbf7ee86f, v42
	v_add_f32_e32 v2, v2, v22
	v_add_f32_e32 v75, v81, v75
	v_mul_f32_e32 v81, 0x3f65296c, v52
	v_add_f32_e32 v45, v48, v45
	v_fma_f32 v48, v51, s6, -v77
	v_sub_f32_e32 v37, v43, v37
	v_mul_f32_e32 v38, 0xbf763a35, v46
	v_add_f32_e32 v2, v2, v24
	v_mov_b32_e32 v82, v81
	v_add_f32_e32 v45, v48, v45
	v_fma_f32 v48, v54, s4, -v78
	v_mul_f32_e32 v39, 0xbf4c4adb, v49
	v_add_f32_e32 v36, v37, v36
	v_sub_f32_e32 v37, v44, v38
	v_add_f32_e32 v2, v2, v26
	v_fmac_f32_e32 v82, 0x3ee437d1, v60
	v_add_f32_e32 v45, v48, v45
	v_fma_f32 v48, v57, s5, -v79
	v_mul_f32_e32 v40, 0xbf06c442, v52
	v_add_f32_e32 v36, v37, v36
	v_sub_f32_e32 v37, v47, v39
	v_add_f32_e32 v2, v2, v28
	v_add_f32_e32 v75, v82, v75
	v_mul_f32_e32 v82, 0x3eb8f4ab, v55
	v_add_f32_e32 v45, v48, v45
	v_fma_f32 v48, v58, s7, -v80
	v_mul_f32_e32 v41, 0xbe3c28d5, v55
	v_add_f32_e32 v36, v37, v36
	v_sub_f32_e32 v37, v50, v40
	v_add_f32_e32 v2, v2, v30
	v_mov_b32_e32 v83, v82
	v_add_f32_e32 v45, v48, v45
	v_fma_f32 v48, v60, s11, -v81
	v_add_f32_e32 v36, v37, v36
	v_sub_f32_e32 v37, v53, v41
	v_add_f32_e32 v2, v2, v32
	s_movk_i32 s18, 0x44
	v_fmac_f32_e32 v83, 0x3f6eb680, v61
	v_add_f32_e32 v45, v48, v45
	v_fma_f32 v48, v61, s17, -v82
	v_add_f32_e32 v36, v37, v36
	v_add_f32_e32 v2, v2, v34
	v_mad_u32_u24 v37, v56, s18, 0
	v_add_f32_e32 v75, v83, v75
	v_add_f32_e32 v45, v48, v45
	ds_write2_b32 v37, v2, v36 offset1:1
	ds_write2_b32 v37, v45, v72 offset0:2 offset1:3
	ds_write2_b32 v37, v70, v68 offset0:4 offset1:5
	;; [unrolled: 1-line block ×7, first 2 shown]
	ds_write_b32 v37, v59 offset:64
.LBB0_13:
	s_or_b64 exec, exec, s[2:3]
	v_sub_f32_e32 v68, v4, v34
	v_add_f32_e32 v66, v5, v35
	v_mul_f32_e32 v69, 0xbeb8f4ab, v68
	v_sub_f32_e32 v65, v6, v32
	v_fma_f32 v2, v66, s17, -v69
	v_add_f32_e32 v62, v7, v33
	v_mul_f32_e32 v67, 0xbf2c7751, v65
	v_sub_f32_e32 v60, v8, v30
	v_add_f32_e32 v2, v3, v2
	v_fma_f32 v4, v62, s16, -v67
	v_add_f32_e32 v58, v9, v31
	v_mul_f32_e32 v63, 0xbf65296c, v60
	v_sub_f32_e32 v54, v10, v28
	v_add_f32_e32 v2, v4, v2
	;; [unrolled: 5-line block ×5, first 2 shown]
	v_fma_f32 v4, v26, s6, -v52
	v_add_f32_e32 v24, v17, v23
	v_mul_f32_e32 v30, 0xbf06c442, v22
	v_add_f32_e32 v2, v4, v2
	v_fma_f32 v4, v24, s5, -v30
	v_lshl_add_u32 v57, v56, 2, 0
	v_add_f32_e32 v64, v4, v2
	v_add_u32_e32 v4, 0xe00, v57
	v_add_u32_e32 v8, 0x200, v57
	;; [unrolled: 1-line block ×7, first 2 shown]
	s_waitcnt lgkmcnt(0)
	s_barrier
	ds_read2_b32 v[42:43], v57 offset1:119
	ds_read2_b32 v[48:49], v4 offset0:56 offset1:175
	ds_read2_b32 v[40:41], v8 offset0:110 offset1:229
	;; [unrolled: 1-line block ×7, first 2 shown]
	v_sub_f32_e32 v18, v18, v20
	v_add_f32_e32 v2, v19, v21
	v_mul_f32_e32 v20, 0xbe3c28d5, v18
	v_fma_f32 v70, v2, s4, -v20
	v_add_f32_e32 v64, v70, v64
	s_waitcnt lgkmcnt(0)
	s_barrier
	s_and_saveexec_b64 s[2:3], s[0:1]
	s_cbranch_execz .LBB0_15
; %bb.14:
	v_add_f32_e32 v5, v3, v5
	v_add_f32_e32 v5, v5, v7
	;; [unrolled: 1-line block ×15, first 2 shown]
	v_mul_f32_e32 v33, 0xbe3c28d5, v68
	v_mul_f32_e32 v70, 0x3f6eb680, v66
	v_add_f32_e32 v5, v5, v35
	v_mul_f32_e32 v9, 0xbf2c7751, v68
	s_mov_b32 s4, 0x3f3d2fb0
	v_mul_f32_e32 v13, 0xbf65296c, v68
	s_mov_b32 s1, 0x3ee437d1
	;; [unrolled: 2-line block ×4, first 2 shown]
	v_mul_f32_e32 v25, 0xbf4c4adb, v68
	v_mul_f32_e32 v29, 0xbf06c442, v68
	s_mov_b32 s7, 0xbf59a7d5
	s_mov_b32 s10, 0xbf7ba420
	v_mov_b32_e32 v35, v33
	v_mul_f32_e32 v71, 0x3f3d2fb0, v62
	v_add_f32_e32 v7, v70, v69
	v_fma_f32 v11, v66, s4, -v9
	v_fmac_f32_e32 v9, 0x3f3d2fb0, v66
	v_fma_f32 v15, v66, s1, -v13
	v_fmac_f32_e32 v13, 0x3ee437d1, v66
	;; [unrolled: 2-line block ×6, first 2 shown]
	v_fmac_f32_e32 v35, 0xbf7ba420, v66
	v_fma_f32 v33, v66, s10, -v33
	v_add_f32_e32 v7, v3, v7
	v_add_f32_e32 v9, v3, v9
	;; [unrolled: 1-line block ×17, first 2 shown]
	v_mul_f32_e32 v33, 0xbf7ee86f, v65
	v_fma_f32 v66, v62, s0, -v33
	v_fmac_f32_e32 v33, 0x3dbcf732, v62
	v_add_f32_e32 v9, v33, v9
	v_mul_f32_e32 v33, 0xbf4c4adb, v65
	v_add_f32_e32 v11, v66, v11
	v_fma_f32 v66, v62, s6, -v33
	v_fmac_f32_e32 v33, 0xbf1a4643, v62
	v_add_f32_e32 v13, v33, v13
	v_mul_f32_e32 v33, 0xbe3c28d5, v65
	v_add_f32_e32 v15, v66, v15
	;; [unrolled: 5-line block ×5, first 2 shown]
	v_fma_f32 v66, v62, s1, -v33
	v_fmac_f32_e32 v33, 0x3ee437d1, v62
	v_add_f32_e32 v29, v33, v29
	v_mul_f32_e32 v33, 0x3eb8f4ab, v65
	s_mov_b32 s11, 0x3f6eb680
	v_mul_f32_e32 v72, 0x3ee437d1, v58
	v_mov_b32_e32 v65, v33
	v_fma_f32 v33, v62, s11, -v33
	v_add_f32_e32 v3, v33, v3
	v_add_f32_e32 v33, v72, v63
	v_add_f32_e32 v7, v33, v7
	v_mul_f32_e32 v33, 0xbf4c4adb, v60
	v_fmac_f32_e32 v65, 0x3f6eb680, v62
	v_fma_f32 v62, v58, s6, -v33
	v_fmac_f32_e32 v33, 0xbf1a4643, v58
	v_add_f32_e32 v9, v33, v9
	v_mul_f32_e32 v33, 0x3e3c28d5, v60
	v_add_f32_e32 v11, v62, v11
	v_fma_f32 v62, v58, s10, -v33
	v_fmac_f32_e32 v33, 0xbf7ba420, v58
	v_add_f32_e32 v13, v33, v13
	v_mul_f32_e32 v33, 0x3f763a35, v60
	v_add_f32_e32 v15, v62, v15
	v_fma_f32 v62, v58, s5, -v33
	v_fmac_f32_e32 v33, 0xbe8c1d8e, v58
	v_add_f32_e32 v17, v33, v17
	v_mul_f32_e32 v33, 0x3f2c7751, v60
	v_add_f32_e32 v19, v62, v19
	v_fma_f32 v62, v58, s4, -v33
	v_fmac_f32_e32 v33, 0x3f3d2fb0, v58
	v_add_f32_e32 v21, v33, v21
	v_mul_f32_e32 v33, 0xbeb8f4ab, v60
	v_add_f32_e32 v23, v62, v23
	v_fma_f32 v62, v58, s11, -v33
	v_fmac_f32_e32 v33, 0x3f6eb680, v58
	v_add_f32_e32 v25, v33, v25
	v_mul_f32_e32 v33, 0xbf7ee86f, v60
	v_add_f32_e32 v27, v62, v27
	v_fma_f32 v62, v58, s0, -v33
	v_fmac_f32_e32 v33, 0x3dbcf732, v58
	v_add_f32_e32 v29, v33, v29
	v_mul_f32_e32 v33, 0xbf06c442, v60
	v_mul_f32_e32 v73, 0x3dbcf732, v53
	v_mov_b32_e32 v60, v33
	v_fma_f32 v33, v58, s7, -v33
	v_add_f32_e32 v3, v33, v3
	v_add_f32_e32 v33, v73, v61
	v_add_f32_e32 v7, v33, v7
	v_mul_f32_e32 v33, 0xbe3c28d5, v54
	v_fmac_f32_e32 v60, 0xbf59a7d5, v58
	v_fma_f32 v58, v53, s10, -v33
	v_fmac_f32_e32 v33, 0xbf7ba420, v53
	v_add_f32_e32 v9, v33, v9
	v_mul_f32_e32 v33, 0x3f763a35, v54
	v_add_f32_e32 v11, v58, v11
	v_fma_f32 v58, v53, s5, -v33
	v_fmac_f32_e32 v33, 0xbe8c1d8e, v53
	v_add_f32_e32 v13, v33, v13
	v_mul_f32_e32 v33, 0x3eb8f4ab, v54
	v_add_f32_e32 v15, v58, v15
	v_fma_f32 v58, v53, s11, -v33
	v_fmac_f32_e32 v33, 0x3f6eb680, v53
	v_add_f32_e32 v17, v33, v17
	v_mul_f32_e32 v33, 0xbf65296c, v54
	v_add_f32_e32 v19, v58, v19
	v_fma_f32 v58, v53, s1, -v33
	v_fmac_f32_e32 v33, 0x3ee437d1, v53
	v_add_f32_e32 v21, v33, v21
	v_mul_f32_e32 v33, 0xbf06c442, v54
	v_add_f32_e32 v23, v58, v23
	v_fma_f32 v58, v53, s7, -v33
	v_fmac_f32_e32 v33, 0xbf59a7d5, v53
	v_add_f32_e32 v25, v33, v25
	v_mul_f32_e32 v33, 0x3f4c4adb, v54
	v_add_f32_e32 v27, v58, v27
	v_fma_f32 v58, v53, s6, -v33
	v_fmac_f32_e32 v33, 0xbf1a4643, v53
	v_add_f32_e32 v29, v33, v29
	v_mul_f32_e32 v33, 0x3f2c7751, v54
	v_mul_f32_e32 v74, 0xbe8c1d8e, v32
	v_mov_b32_e32 v54, v33
	v_fma_f32 v33, v53, s4, -v33
	v_add_f32_e32 v3, v33, v3
	v_add_f32_e32 v33, v74, v55
	v_add_f32_e32 v7, v33, v7
	v_mul_f32_e32 v33, 0x3f06c442, v34
	v_fmac_f32_e32 v54, 0x3f3d2fb0, v53
	v_fma_f32 v53, v32, s7, -v33
	v_fmac_f32_e32 v33, 0xbf59a7d5, v32
	v_add_f32_e32 v9, v33, v9
	v_mul_f32_e32 v33, 0x3f2c7751, v34
	v_add_f32_e32 v11, v53, v11
	v_fma_f32 v53, v32, s4, -v33
	v_fmac_f32_e32 v33, 0x3f3d2fb0, v32
	v_add_f32_e32 v13, v33, v13
	v_mul_f32_e32 v33, 0xbf65296c, v34
	v_add_f32_e32 v15, v53, v15
	v_fma_f32 v53, v32, s1, -v33
	v_fmac_f32_e32 v33, 0x3ee437d1, v32
	v_add_f32_e32 v17, v33, v17
	v_mul_f32_e32 v33, 0xbe3c28d5, v34
	v_add_f32_e32 v19, v53, v19
	v_fma_f32 v53, v32, s10, -v33
	v_fmac_f32_e32 v33, 0xbf7ba420, v32
	v_add_f32_e32 v21, v33, v21
	v_mul_f32_e32 v33, 0x3f7ee86f, v34
	v_add_f32_e32 v23, v53, v23
	v_fma_f32 v53, v32, s0, -v33
	v_fmac_f32_e32 v33, 0x3dbcf732, v32
	v_add_f32_e32 v25, v33, v25
	v_mul_f32_e32 v33, 0xbeb8f4ab, v34
	v_add_f32_e32 v27, v53, v27
	v_fma_f32 v53, v32, s11, -v33
	v_fmac_f32_e32 v33, 0x3f6eb680, v32
	v_add_f32_e32 v29, v33, v29
	v_mul_f32_e32 v33, 0xbf4c4adb, v34
	v_mov_b32_e32 v34, v33
	v_mul_f32_e32 v75, 0xbf1a4643, v26
	v_fmac_f32_e32 v34, 0xbf1a4643, v32
	v_fma_f32 v32, v32, s6, -v33
	v_add_f32_e32 v3, v32, v3
	v_add_f32_e32 v32, v75, v52
	;; [unrolled: 1-line block ×3, first 2 shown]
	v_mul_f32_e32 v32, 0x3f763a35, v28
	v_fma_f32 v33, v26, s5, -v32
	v_fmac_f32_e32 v32, 0xbe8c1d8e, v26
	v_add_f32_e32 v9, v32, v9
	v_mul_f32_e32 v32, 0xbeb8f4ab, v28
	v_add_f32_e32 v11, v33, v11
	v_fma_f32 v33, v26, s11, -v32
	v_fmac_f32_e32 v32, 0x3f6eb680, v26
	v_add_f32_e32 v13, v32, v13
	v_mul_f32_e32 v32, 0xbf06c442, v28
	v_add_f32_e32 v15, v33, v15
	v_fma_f32 v33, v26, s7, -v32
	v_fmac_f32_e32 v32, 0xbf59a7d5, v26
	v_add_f32_e32 v17, v32, v17
	v_mul_f32_e32 v32, 0x3f7ee86f, v28
	v_add_f32_e32 v19, v33, v19
	v_fma_f32 v33, v26, s0, -v32
	v_fmac_f32_e32 v32, 0x3dbcf732, v26
	v_add_f32_e32 v21, v32, v21
	v_mul_f32_e32 v32, 0xbf2c7751, v28
	v_add_f32_e32 v23, v33, v23
	v_fma_f32 v33, v26, s4, -v32
	v_fmac_f32_e32 v32, 0x3f3d2fb0, v26
	v_add_f32_e32 v25, v32, v25
	v_mul_f32_e32 v32, 0xbe3c28d5, v28
	v_add_f32_e32 v27, v33, v27
	v_fma_f32 v33, v26, s10, -v32
	v_fmac_f32_e32 v32, 0xbf7ba420, v26
	v_mul_f32_e32 v28, 0x3f65296c, v28
	v_add_f32_e32 v29, v32, v29
	v_mov_b32_e32 v32, v28
	v_mul_f32_e32 v76, 0xbf59a7d5, v24
	v_fmac_f32_e32 v32, 0x3ee437d1, v26
	v_fma_f32 v26, v26, s1, -v28
	v_add_f32_e32 v3, v26, v3
	v_add_f32_e32 v26, v76, v30
	v_add_f32_e32 v7, v26, v7
	v_mul_f32_e32 v26, 0x3f65296c, v22
	v_fma_f32 v28, v24, s1, -v26
	v_fmac_f32_e32 v26, 0x3ee437d1, v24
	v_add_f32_e32 v9, v26, v9
	v_mul_f32_e32 v26, 0xbf7ee86f, v22
	v_add_f32_e32 v11, v28, v11
	v_fma_f32 v28, v24, s0, -v26
	v_fmac_f32_e32 v26, 0x3dbcf732, v24
	v_add_f32_e32 v13, v26, v13
	v_mul_f32_e32 v26, 0x3f4c4adb, v22
	v_add_f32_e32 v15, v28, v15
	;; [unrolled: 5-line block ×4, first 2 shown]
	v_fma_f32 v28, v24, s10, -v26
	v_fmac_f32_e32 v26, 0xbf7ba420, v24
	v_mul_f32_e32 v77, 0xbf7ba420, v2
	v_add_f32_e32 v25, v26, v25
	v_add_f32_e32 v26, v28, v27
	v_mul_f32_e32 v27, 0x3f2c7751, v22
	v_fma_f32 v28, v24, s4, -v27
	v_fmac_f32_e32 v27, 0x3f3d2fb0, v24
	v_mul_f32_e32 v22, 0xbf763a35, v22
	v_add_f32_e32 v20, v77, v20
	v_add_f32_e32 v27, v27, v29
	v_mov_b32_e32 v29, v22
	v_fma_f32 v22, v24, s5, -v22
	v_add_f32_e32 v7, v20, v7
	v_mul_f32_e32 v20, 0x3eb8f4ab, v18
	v_add_f32_e32 v3, v22, v3
	v_fma_f32 v22, v2, s11, -v20
	v_fmac_f32_e32 v20, 0x3f6eb680, v2
	v_add_f32_e32 v9, v20, v9
	v_mul_f32_e32 v20, 0xbf06c442, v18
	v_add_f32_e32 v11, v22, v11
	v_fma_f32 v22, v2, s7, -v20
	v_fmac_f32_e32 v20, 0xbf59a7d5, v2
	;; [unrolled: 5-line block ×3, first 2 shown]
	v_add_f32_e32 v17, v20, v17
	v_mul_f32_e32 v20, 0xbf4c4adb, v18
	v_add_f32_e32 v31, v66, v31
	v_add_f32_e32 v35, v65, v35
	;; [unrolled: 1-line block ×3, first 2 shown]
	v_fma_f32 v22, v2, s6, -v20
	v_fmac_f32_e32 v20, 0xbf1a4643, v2
	v_add_f32_e32 v31, v62, v31
	v_add_f32_e32 v35, v60, v35
	;; [unrolled: 1-line block ×4, first 2 shown]
	v_mul_f32_e32 v22, 0x3f65296c, v18
	v_add_f32_e32 v31, v58, v31
	v_add_f32_e32 v35, v54, v35
	v_fmac_f32_e32 v29, 0xbe8c1d8e, v24
	v_fma_f32 v23, v2, s1, -v22
	v_mul_f32_e32 v24, 0xbf763a35, v18
	v_mul_f32_e32 v18, 0x3f7ee86f, v18
	v_add_f32_e32 v31, v53, v31
	v_add_f32_e32 v34, v34, v35
	v_fmac_f32_e32 v22, 0x3ee437d1, v2
	v_add_f32_e32 v23, v23, v26
	v_mov_b32_e32 v26, v18
	v_add_f32_e32 v31, v33, v31
	v_add_f32_e32 v32, v32, v34
	;; [unrolled: 1-line block ×3, first 2 shown]
	v_fma_f32 v25, v2, s5, -v24
	v_fmac_f32_e32 v24, 0xbe8c1d8e, v2
	v_fmac_f32_e32 v26, 0x3dbcf732, v2
	v_fma_f32 v2, v2, s0, -v18
	v_add_f32_e32 v28, v28, v31
	v_add_f32_e32 v29, v29, v32
	;; [unrolled: 1-line block ×3, first 2 shown]
	v_lshl_add_u32 v3, v56, 6, v57
	v_add_f32_e32 v24, v24, v27
	v_add_f32_e32 v25, v25, v28
	;; [unrolled: 1-line block ×3, first 2 shown]
	ds_write2_b32 v3, v5, v7 offset1:1
	ds_write2_b32 v3, v9, v13 offset0:2 offset1:3
	ds_write2_b32 v3, v17, v20 offset0:4 offset1:5
	ds_write2_b32 v3, v22, v24 offset0:6 offset1:7
	ds_write2_b32 v3, v26, v2 offset0:8 offset1:9
	ds_write2_b32 v3, v25, v23 offset0:10 offset1:11
	ds_write2_b32 v3, v21, v19 offset0:12 offset1:13
	ds_write2_b32 v3, v15, v11 offset0:14 offset1:15
	ds_write_b32 v3, v64 offset:64
.LBB0_15:
	s_or_b64 exec, exec, s[2:3]
	s_movk_i32 s0, 0xf1
	v_add_u32_e32 v62, 0x77, v56
	v_mul_lo_u16_sdwa v5, v56, s0 dst_sel:DWORD dst_unused:UNUSED_PAD src0_sel:BYTE_0 src1_sel:DWORD
	v_add_u32_e32 v60, 0xee, v56
	v_lshrrev_b16_e32 v7, 12, v5
	v_mul_lo_u16_sdwa v15, v62, s0 dst_sel:DWORD dst_unused:UNUSED_PAD src0_sel:BYTE_0 src1_sel:DWORD
	s_mov_b32 s0, 0xf0f1
	v_add_u32_e32 v58, 0x165, v56
	v_mul_lo_u16_e32 v2, 17, v7
	v_lshrrev_b16_e32 v35, 12, v15
	v_mul_u32_u24_sdwa v74, v60, s0 dst_sel:DWORD dst_unused:UNUSED_PAD src0_sel:WORD_0 src1_sel:DWORD
	v_sub_u16_e32 v9, v56, v2
	v_mul_lo_u16_e32 v2, 17, v35
	v_lshrrev_b32_e32 v75, 20, v74
	v_mul_u32_u24_sdwa v77, v58, s0 dst_sel:DWORD dst_unused:UNUSED_PAD src0_sel:WORD_0 src1_sel:DWORD
	v_sub_u16_e32 v73, v62, v2
	v_mul_lo_u16_e32 v2, 17, v75
	v_lshrrev_b32_e32 v78, 20, v77
	v_mov_b32_e32 v11, 3
	v_sub_u16_e32 v76, v60, v2
	v_mul_lo_u16_e32 v2, 17, v78
	v_add_u32_e32 v63, 0x1dc, v56
	v_lshlrev_b32_sdwa v13, v11, v9 dst_sel:DWORD dst_unused:UNUSED_PAD src0_sel:DWORD src1_sel:BYTE_0
	v_sub_u16_e32 v79, v58, v2
	v_add_u32_e32 v61, 0x253, v56
	s_waitcnt lgkmcnt(0)
	s_barrier
	v_lshlrev_b32_sdwa v23, v11, v73 dst_sel:DWORD dst_unused:UNUSED_PAD src0_sel:DWORD src1_sel:BYTE_0
	v_lshlrev_b32_e32 v24, 3, v76
	v_lshlrev_b32_e32 v25, 3, v79
	global_load_dwordx2 v[2:3], v13, s[8:9]
	global_load_dwordx2 v[17:18], v23, s[8:9]
	;; [unrolled: 1-line block ×4, first 2 shown]
	v_mul_u32_u24_sdwa v13, v63, s0 dst_sel:DWORD dst_unused:UNUSED_PAD src0_sel:WORD_0 src1_sel:DWORD
	v_lshrrev_b32_e32 v80, 20, v13
	v_add_u32_e32 v82, 0x2ca, v56
	v_mul_u32_u24_sdwa v84, v61, s0 dst_sel:DWORD dst_unused:UNUSED_PAD src0_sel:WORD_0 src1_sel:DWORD
	v_mul_lo_u16_e32 v23, 17, v80
	v_add_u32_e32 v83, 0x341, v56
	v_lshrrev_b32_e32 v85, 20, v84
	v_mul_u32_u24_sdwa v87, v82, s0 dst_sel:DWORD dst_unused:UNUSED_PAD src0_sel:WORD_0 src1_sel:DWORD
	v_sub_u16_e32 v81, v63, v23
	v_mul_lo_u16_e32 v25, 17, v85
	v_lshrrev_b32_e32 v88, 20, v87
	v_mul_u32_u24_sdwa v90, v83, s0 dst_sel:DWORD dst_unused:UNUSED_PAD src0_sel:WORD_0 src1_sel:DWORD
	v_lshlrev_b32_e32 v23, 3, v81
	v_sub_u16_e32 v86, v61, v25
	v_mul_lo_u16_e32 v26, 17, v88
	v_lshrrev_b32_e32 v91, 20, v90
	global_load_dwordx2 v[23:24], v23, s[8:9]
	v_lshlrev_b32_e32 v25, 3, v86
	v_sub_u16_e32 v89, v82, v26
	global_load_dwordx2 v[25:26], v25, s[8:9]
	v_mul_lo_u16_e32 v29, 17, v91
	v_lshlrev_b32_e32 v27, 3, v89
	global_load_dwordx2 v[27:28], v27, s[8:9]
	v_sub_u16_e32 v92, v83, v29
	v_lshlrev_b32_e32 v29, 3, v92
	global_load_dwordx2 v[29:30], v29, s[8:9]
	ds_read2_b32 v[31:32], v57 offset1:119
	ds_read2_b32 v[33:34], v4 offset0:56 offset1:175
	ds_read2_b32 v[52:53], v8 offset0:110 offset1:229
	;; [unrolled: 1-line block ×7, first 2 shown]
	v_mul_u32_u24_e32 v7, 0x88, v7
	s_waitcnt vmcnt(0) lgkmcnt(0)
	s_barrier
	v_lshrrev_b16_e32 v5, 13, v5
	v_lshrrev_b16_e32 v15, 13, v15
	v_cmp_gt_u32_e64 s[0:1], 34, v56
	v_mul_f32_e32 v93, v33, v3
	v_mul_f32_e32 v3, v48, v3
	;; [unrolled: 1-line block ×8, first 2 shown]
	v_fma_f32 v48, v48, v2, -v93
	v_fmac_f32_e32 v3, v33, v2
	v_fma_f32 v2, v49, v17, -v94
	v_fmac_f32_e32 v18, v34, v17
	;; [unrolled: 2-line block ×4, first 2 shown]
	v_mov_b32_e32 v93, 2
	v_lshlrev_b32_sdwa v9, v93, v9 dst_sel:DWORD dst_unused:UNUSED_PAD src0_sel:DWORD src1_sel:BYTE_0
	v_sub_f32_e32 v33, v31, v3
	v_add3_u32 v7, 0, v7, v9
	v_mul_f32_e32 v97, v67, v24
	v_mul_f32_e32 v24, v46, v24
	v_fma_f32 v21, v46, v23, -v97
	v_fmac_f32_e32 v24, v67, v23
	v_mul_f32_e32 v23, v68, v26
	v_mul_f32_e32 v26, v47, v26
	v_fma_f32 v23, v47, v25, -v23
	v_fmac_f32_e32 v26, v68, v25
	;; [unrolled: 4-line block ×4, first 2 shown]
	v_sub_f32_e32 v29, v42, v48
	v_fma_f32 v3, v42, 2.0, -v29
	v_sub_f32_e32 v2, v43, v2
	ds_write2_b32 v7, v3, v29 offset1:17
	v_mul_u32_u24_e32 v3, 0x88, v35
	v_lshlrev_b32_sdwa v9, v93, v73 dst_sel:DWORD dst_unused:UNUSED_PAD src0_sel:DWORD src1_sel:BYTE_0
	v_sub_f32_e32 v34, v32, v18
	v_fma_f32 v18, v43, 2.0, -v2
	v_add3_u32 v9, 0, v3, v9
	v_sub_f32_e32 v17, v40, v17
	ds_write2_b32 v9, v18, v2 offset1:17
	v_mul_u32_u24_e32 v2, 0x88, v75
	v_lshlrev_b32_e32 v3, 2, v76
	v_sub_f32_e32 v42, v52, v20
	v_fma_f32 v20, v40, 2.0, -v17
	v_add3_u32 v29, 0, v2, v3
	v_mul_u32_u24_e32 v2, 0x88, v78
	v_lshlrev_b32_e32 v3, 2, v79
	v_sub_f32_e32 v19, v41, v19
	v_sub_f32_e32 v21, v38, v21
	ds_write2_b32 v29, v20, v17 offset1:17
	v_add3_u32 v17, 0, v2, v3
	v_mul_u32_u24_e32 v2, 0x88, v80
	v_lshlrev_b32_e32 v3, 2, v81
	v_sub_f32_e32 v43, v53, v22
	v_fma_f32 v22, v41, 2.0, -v19
	v_fma_f32 v38, v38, 2.0, -v21
	v_sub_f32_e32 v23, v39, v23
	v_add3_u32 v35, 0, v2, v3
	v_mul_u32_u24_e32 v2, 0x88, v85
	v_lshlrev_b32_e32 v3, 2, v86
	v_fma_f32 v39, v39, 2.0, -v23
	v_sub_f32_e32 v25, v36, v25
	ds_write2_b32 v17, v22, v19 offset1:17
	ds_write2_b32 v35, v38, v21 offset1:17
	v_add3_u32 v38, 0, v2, v3
	v_mul_u32_u24_e32 v2, 0x88, v88
	v_lshlrev_b32_e32 v3, 2, v89
	v_fma_f32 v36, v36, 2.0, -v25
	v_sub_f32_e32 v27, v37, v27
	ds_write2_b32 v38, v39, v23 offset1:17
	v_add3_u32 v39, 0, v2, v3
	v_mul_u32_u24_e32 v2, 0x88, v91
	v_lshlrev_b32_e32 v3, 2, v92
	v_fma_f32 v31, v31, 2.0, -v33
	v_sub_f32_e32 v24, v65, v24
	v_sub_f32_e32 v26, v66, v26
	;; [unrolled: 1-line block ×4, first 2 shown]
	v_fma_f32 v37, v37, 2.0, -v27
	ds_write2_b32 v39, v36, v25 offset1:17
	v_add3_u32 v25, 0, v2, v3
	v_lshrrev_b32_e32 v73, 21, v74
	v_fma_f32 v32, v32, 2.0, -v34
	v_fma_f32 v40, v52, 2.0, -v42
	;; [unrolled: 1-line block ×7, first 2 shown]
	ds_write2_b32 v25, v37, v27 offset1:17
	s_waitcnt lgkmcnt(0)
	s_barrier
	ds_read2_b32 v[65:66], v57 offset1:119
	ds_read2_b32 v[22:23], v4 offset0:56 offset1:175
	ds_read2_b32 v[67:68], v8 offset0:110 offset1:229
	;; [unrolled: 1-line block ×7, first 2 shown]
	s_waitcnt lgkmcnt(0)
	s_barrier
	ds_write2_b32 v7, v31, v33 offset1:17
	ds_write2_b32 v9, v32, v34 offset1:17
	;; [unrolled: 1-line block ×8, first 2 shown]
	v_mul_lo_u16_e32 v7, 34, v5
	v_mul_lo_u16_e32 v24, 34, v73
	v_lshrrev_b32_e32 v75, 21, v77
	v_sub_u16_e32 v7, v56, v7
	v_mul_lo_u16_e32 v17, 34, v15
	v_sub_u16_e32 v74, v60, v24
	v_mul_lo_u16_e32 v24, 34, v75
	v_lshlrev_b32_sdwa v9, v11, v7 dst_sel:DWORD dst_unused:UNUSED_PAD src0_sel:DWORD src1_sel:BYTE_0
	v_sub_u16_e32 v17, v62, v17
	v_sub_u16_e32 v76, v58, v24
	s_waitcnt lgkmcnt(0)
	s_barrier
	v_lshlrev_b32_sdwa v11, v11, v17 dst_sel:DWORD dst_unused:UNUSED_PAD src0_sel:DWORD src1_sel:BYTE_0
	v_lshlrev_b32_e32 v32, 3, v74
	v_lshlrev_b32_e32 v33, 3, v76
	global_load_dwordx2 v[30:31], v9, s[8:9] offset:136
	global_load_dwordx2 v[28:29], v11, s[8:9] offset:136
	;; [unrolled: 1-line block ×4, first 2 shown]
	v_lshrrev_b32_e32 v9, 21, v13
	v_lshrrev_b32_e32 v77, 21, v84
	;; [unrolled: 1-line block ×3, first 2 shown]
	v_mul_lo_u16_e32 v11, 34, v9
	v_mul_lo_u16_e32 v32, 34, v77
	;; [unrolled: 1-line block ×3, first 2 shown]
	v_sub_u16_e32 v11, v63, v11
	v_sub_u16_e32 v78, v61, v32
	v_sub_u16_e32 v80, v82, v33
	v_lshlrev_b32_e32 v13, 3, v11
	v_lshlrev_b32_e32 v32, 3, v78
	;; [unrolled: 1-line block ×3, first 2 shown]
	v_lshrrev_b32_e32 v81, 21, v90
	global_load_dwordx2 v[46:47], v13, s[8:9] offset:136
	global_load_dwordx2 v[44:45], v32, s[8:9] offset:136
	;; [unrolled: 1-line block ×3, first 2 shown]
	v_mul_lo_u16_e32 v13, 34, v81
	v_sub_u16_e32 v13, v83, v13
	v_lshlrev_b32_e32 v32, 3, v13
	global_load_dwordx2 v[40:41], v32, s[8:9] offset:136
	ds_read2_b32 v[38:39], v57 offset1:119
	ds_read2_b32 v[54:55], v4 offset0:56 offset1:175
	ds_read2_b32 v[36:37], v8 offset0:110 offset1:229
	;; [unrolled: 1-line block ×7, first 2 shown]
	v_mul_u32_u24_e32 v5, 0x110, v5
	v_lshlrev_b32_sdwa v7, v93, v7 dst_sel:DWORD dst_unused:UNUSED_PAD src0_sel:DWORD src1_sel:BYTE_0
	s_waitcnt vmcnt(0) lgkmcnt(0)
	s_barrier
	v_mul_f32_e32 v4, v54, v31
	v_fma_f32 v4, v22, v30, -v4
	v_mul_f32_e32 v8, v55, v29
	v_fma_f32 v8, v23, v28, -v8
	v_sub_f32_e32 v4, v65, v4
	v_fma_f32 v84, v65, 2.0, -v4
	v_sub_f32_e32 v8, v66, v8
	v_fma_f32 v85, v66, 2.0, -v8
	v_mul_f32_e32 v10, v52, v27
	v_mul_f32_e32 v12, v53, v25
	v_fma_f32 v10, v20, v26, -v10
	v_fma_f32 v12, v21, v24, -v12
	v_sub_f32_e32 v10, v67, v10
	v_sub_f32_e32 v12, v68, v12
	v_fma_f32 v67, v67, 2.0, -v10
	v_fma_f32 v68, v68, 2.0, -v12
	v_mul_f32_e32 v14, v50, v47
	v_mul_f32_e32 v16, v51, v45
	v_mul_f32_e32 v82, v48, v43
	v_fma_f32 v82, v2, v42, -v82
	v_sub_f32_e32 v82, v71, v82
	v_fma_f32 v86, v71, 2.0, -v82
	v_mul_f32_e32 v83, v49, v41
	v_fma_f32 v83, v3, v40, -v83
	v_add3_u32 v71, 0, v5, v7
	v_sub_f32_e32 v66, v72, v83
	ds_write2_b32 v71, v84, v4 offset1:34
	v_mul_u32_u24_e32 v4, 0x110, v15
	v_lshlrev_b32_sdwa v5, v93, v17 dst_sel:DWORD dst_unused:UNUSED_PAD src0_sel:DWORD src1_sel:BYTE_0
	v_fma_f32 v65, v72, 2.0, -v66
	v_add3_u32 v72, 0, v4, v5
	v_mul_u32_u24_e32 v4, 0x110, v73
	v_lshlrev_b32_e32 v5, 2, v74
	v_add3_u32 v73, 0, v4, v5
	v_mul_u32_u24_e32 v4, 0x110, v75
	v_lshlrev_b32_e32 v5, 2, v76
	;; [unrolled: 3-line block ×3, first 2 shown]
	v_fma_f32 v14, v18, v46, -v14
	v_fma_f32 v16, v19, v44, -v16
	v_add3_u32 v75, 0, v4, v5
	v_mul_u32_u24_e32 v4, 0x110, v77
	v_lshlrev_b32_e32 v5, 2, v78
	v_sub_f32_e32 v14, v69, v14
	v_sub_f32_e32 v16, v70, v16
	v_add3_u32 v76, 0, v4, v5
	v_mul_u32_u24_e32 v4, 0x110, v79
	v_lshlrev_b32_e32 v5, 2, v80
	v_fma_f32 v69, v69, 2.0, -v14
	v_fma_f32 v70, v70, 2.0, -v16
	v_add3_u32 v77, 0, v4, v5
	v_mul_u32_u24_e32 v4, 0x110, v81
	v_lshlrev_b32_e32 v5, 2, v13
	ds_write2_b32 v72, v85, v8 offset1:34
	ds_write2_b32 v73, v67, v10 offset1:34
	;; [unrolled: 1-line block ×6, first 2 shown]
	v_add3_u32 v78, 0, v4, v5
	v_add_u32_e32 v79, 0x400, v57
	v_add_u32_e32 v80, 0x800, v57
	;; [unrolled: 1-line block ×5, first 2 shown]
	ds_write2_b32 v78, v65, v66 offset1:34
	s_waitcnt lgkmcnt(0)
	s_barrier
	ds_read2_b32 v[4:5], v57 offset1:119
	ds_read2_b32 v[8:9], v79 offset0:16 offset1:135
	ds_read2_b32 v[10:11], v80 offset0:32 offset1:151
	;; [unrolled: 1-line block ×6, first 2 shown]
                                        ; implicit-def: $vgpr69
                                        ; implicit-def: $vgpr67
                                        ; implicit-def: $vgpr68
                                        ; implicit-def: $vgpr70
	s_and_saveexec_b64 s[2:3], s[0:1]
	s_cbranch_execz .LBB0_17
; %bb.16:
	ds_read_b32 v65, v57 offset:952
	ds_read_b32 v66, v57 offset:2040
	;; [unrolled: 1-line block ×7, first 2 shown]
.LBB0_17:
	s_or_b64 exec, exec, s[2:3]
	v_mul_f32_e32 v22, v22, v31
	v_mul_f32_e32 v23, v23, v29
	;; [unrolled: 1-line block ×6, first 2 shown]
	v_fmac_f32_e32 v22, v54, v30
	v_fmac_f32_e32 v23, v55, v28
	;; [unrolled: 1-line block ×6, first 2 shown]
	v_mul_f32_e32 v2, v2, v43
	v_mul_f32_e32 v3, v3, v41
	v_fmac_f32_e32 v2, v48, v42
	v_fmac_f32_e32 v3, v49, v40
	v_sub_f32_e32 v22, v38, v22
	v_sub_f32_e32 v23, v39, v23
	;; [unrolled: 1-line block ×6, first 2 shown]
	v_fma_f32 v24, v38, 2.0, -v22
	v_fma_f32 v25, v39, 2.0, -v23
	;; [unrolled: 1-line block ×6, first 2 shown]
	v_sub_f32_e32 v2, v32, v2
	v_sub_f32_e32 v42, v33, v3
	v_fma_f32 v31, v32, 2.0, -v2
	v_fma_f32 v30, v33, 2.0, -v42
	s_waitcnt lgkmcnt(0)
	s_barrier
	ds_write2_b32 v71, v24, v22 offset1:34
	ds_write2_b32 v72, v25, v23 offset1:34
	;; [unrolled: 1-line block ×8, first 2 shown]
	s_waitcnt lgkmcnt(0)
	s_barrier
	ds_read2_b32 v[2:3], v57 offset1:119
	ds_read2_b32 v[28:29], v79 offset0:16 offset1:135
	ds_read2_b32 v[26:27], v80 offset0:32 offset1:151
	;; [unrolled: 1-line block ×5, first 2 shown]
	v_add_u32_e32 v20, 0x1800, v57
	ds_read2_b32 v[20:21], v20 offset0:96 offset1:215
                                        ; implicit-def: $vgpr46
                                        ; implicit-def: $vgpr44
                                        ; implicit-def: $vgpr45
                                        ; implicit-def: $vgpr47
	s_and_saveexec_b64 s[2:3], s[0:1]
	s_cbranch_execz .LBB0_19
; %bb.18:
	ds_read_b32 v30, v57 offset:952
	ds_read_b32 v42, v57 offset:2040
	;; [unrolled: 1-line block ×7, first 2 shown]
.LBB0_19:
	s_or_b64 exec, exec, s[2:3]
	s_movk_i32 s2, 0x44
	v_add_u32_e32 v31, 0xffffffbc, v56
	v_cmp_gt_u32_e64 s[2:3], s2, v56
	v_cndmask_b32_e64 v95, v31, v56, s[2:3]
	v_mul_i32_i24_e32 v31, 6, v95
	v_mov_b32_e32 v32, 0
	v_lshlrev_b64 v[31:32], 3, v[31:32]
	v_mov_b32_e32 v33, s9
	v_add_co_u32_e64 v31, s[2:3], s8, v31
	v_addc_co_u32_e64 v32, s[2:3], v33, v32, s[2:3]
	s_movk_i32 s2, 0x79
	global_load_dwordx4 v[38:41], v[31:32], off offset:408
	global_load_dwordx4 v[48:51], v[31:32], off offset:424
	;; [unrolled: 1-line block ×3, first 2 shown]
	v_mul_lo_u16_sdwa v32, v62, s2 dst_sel:DWORD dst_unused:UNUSED_PAD src0_sel:BYTE_0 src1_sel:DWORD
	v_lshrrev_b16_e32 v96, 13, v32
	v_mul_lo_u16_e32 v32, 0x44, v96
	v_mov_b32_e32 v31, 6
	v_sub_u16_e32 v97, v62, v32
	v_mul_u32_u24_sdwa v31, v97, v31 dst_sel:DWORD dst_unused:UNUSED_PAD src0_sel:BYTE_0 src1_sel:DWORD
	v_lshlrev_b32_e32 v31, 3, v31
	s_mov_b32 s2, 0xf0f1
	global_load_dwordx4 v[71:74], v31, s[8:9] offset:408
	global_load_dwordx4 v[75:78], v31, s[8:9] offset:440
	;; [unrolled: 1-line block ×3, first 2 shown]
	v_mul_u32_u24_sdwa v31, v60, s2 dst_sel:DWORD dst_unused:UNUSED_PAD src0_sel:WORD_0 src1_sel:DWORD
	v_lshrrev_b32_e32 v31, 22, v31
	v_mul_lo_u16_e32 v31, 0x44, v31
	v_sub_u16_e32 v98, v60, v31
	v_mul_u32_u24_e32 v31, 6, v98
	v_lshlrev_b32_e32 v31, 3, v31
	global_load_dwordx4 v[83:86], v31, s[8:9] offset:408
	global_load_dwordx4 v[87:90], v31, s[8:9] offset:424
	global_load_dwordx4 v[91:94], v31, s[8:9] offset:440
	s_mov_b32 s4, 0x3f5ff5aa
	s_mov_b32 s5, 0x3f3bfb3b
	;; [unrolled: 1-line block ×4, first 2 shown]
	s_movk_i32 s2, 0x43
	v_cmp_lt_u32_e64 s[2:3], s2, v56
	s_waitcnt vmcnt(0) lgkmcnt(0)
	s_barrier
	v_mul_f32_e32 v36, v28, v39
	v_mul_f32_e32 v31, v8, v39
	;; [unrolled: 1-line block ×11, first 2 shown]
	v_fma_f32 v36, v8, v38, -v36
	v_mul_f32_e32 v8, v11, v74
	v_fmac_f32_e32 v31, v28, v38
	v_fma_f32 v37, v10, v40, -v37
	v_fmac_f32_e32 v32, v26, v40
	v_fma_f32 v38, v12, v48, -v41
	v_fma_f32 v40, v14, v50, -v43
	v_fmac_f32_e32 v34, v22, v50
	v_fma_f32 v41, v16, v52, -v49
	v_fmac_f32_e32 v35, v18, v52
	v_fma_f32 v43, v6, v54, -v51
	v_mul_f32_e32 v22, v27, v74
	v_mul_f32_e32 v26, v23, v82
	;; [unrolled: 1-line block ×4, first 2 shown]
	v_fmac_f32_e32 v8, v27, v73
	v_mul_f32_e32 v27, v68, v92
	v_mul_f32_e32 v39, v6, v55
	;; [unrolled: 1-line block ×6, first 2 shown]
	v_fma_f32 v15, v15, v81, -v26
	v_fmac_f32_e32 v12, v23, v81
	v_fmac_f32_e32 v18, v42, v83
	v_mul_f32_e32 v23, v70, v88
	v_mul_f32_e32 v26, v45, v92
	v_fmac_f32_e32 v27, v45, v91
	v_add_f32_e32 v42, v36, v43
	v_add_f32_e32 v45, v37, v41
	v_fmac_f32_e32 v33, v24, v48
	v_fmac_f32_e32 v39, v20, v54
	v_mul_f32_e32 v20, v29, v72
	v_mul_f32_e32 v24, v25, v80
	;; [unrolled: 1-line block ×5, first 2 shown]
	v_fmac_f32_e32 v6, v29, v71
	v_fma_f32 v11, v11, v73, -v22
	v_fmac_f32_e32 v10, v25, v79
	v_fmac_f32_e32 v14, v19, v75
	v_fma_f32 v19, v66, v83, -v49
	v_mul_f32_e32 v22, v47, v88
	v_fmac_f32_e32 v23, v47, v87
	v_mul_f32_e32 v25, v69, v90
	v_mul_f32_e32 v29, v67, v94
	v_add_f32_e32 v47, v38, v40
	v_add_f32_e32 v49, v45, v42
	v_mul_f32_e32 v16, v7, v78
	v_fma_f32 v9, v9, v71, -v20
	v_fma_f32 v13, v13, v79, -v24
	;; [unrolled: 1-line block ×5, first 2 shown]
	v_mul_f32_e32 v24, v46, v90
	v_fmac_f32_e32 v25, v46, v89
	v_mul_f32_e32 v28, v44, v94
	v_fmac_f32_e32 v29, v44, v93
	v_sub_f32_e32 v44, v31, v39
	v_sub_f32_e32 v46, v32, v35
	;; [unrolled: 1-line block ×6, first 2 shown]
	v_add_f32_e32 v47, v47, v49
	v_add_f32_e32 v51, v48, v46
	v_sub_f32_e32 v52, v48, v46
	v_sub_f32_e32 v46, v46, v44
	v_add_f32_e32 v4, v4, v47
	v_sub_f32_e32 v48, v44, v48
	v_add_f32_e32 v44, v51, v44
	v_mul_f32_e32 v42, 0x3f4a47b2, v42
	v_mul_f32_e32 v49, 0x3d64c772, v45
	;; [unrolled: 1-line block ×4, first 2 shown]
	v_mov_b32_e32 v53, v4
	v_fmac_f32_e32 v53, 0xbf955555, v47
	v_fma_f32 v47, v50, s5, -v49
	v_fma_f32 v49, v50, s6, -v42
	v_fmac_f32_e32 v42, 0x3d64c772, v45
	v_fma_f32 v45, v46, s4, -v51
	v_fma_f32 v46, v48, s7, -v52
	v_fmac_f32_e32 v51, 0x3eae86e6, v48
	v_add_f32_e32 v48, v49, v53
	v_fmac_f32_e32 v46, 0x3ee1c552, v44
	v_fmac_f32_e32 v51, 0x3ee1c552, v44
	;; [unrolled: 1-line block ×3, first 2 shown]
	v_add_f32_e32 v50, v46, v48
	v_sub_f32_e32 v46, v48, v46
	v_add_f32_e32 v44, v9, v7
	v_add_f32_e32 v48, v11, v17
	;; [unrolled: 1-line block ×6, first 2 shown]
	v_fmac_f32_e32 v16, v21, v77
	v_mul_f32_e32 v21, v59, v86
	v_add_f32_e32 v49, v51, v42
	v_sub_f32_e32 v42, v42, v51
	v_sub_f32_e32 v51, v8, v14
	;; [unrolled: 1-line block ×6, first 2 shown]
	v_add_f32_e32 v53, v53, v55
	v_fmac_f32_e32 v21, v64, v85
	v_sub_f32_e32 v52, v47, v45
	v_add_f32_e32 v47, v45, v47
	v_sub_f32_e32 v45, v6, v16
	v_add_f32_e32 v64, v54, v51
	;; [unrolled: 2-line block ×3, first 2 shown]
	v_fma_f32 v28, v67, v93, -v28
	v_sub_f32_e32 v54, v45, v54
	v_sub_f32_e32 v51, v51, v45
	v_add_f32_e32 v45, v64, v45
	v_mul_f32_e32 v44, 0x3f4a47b2, v44
	v_mul_f32_e32 v55, 0x3d64c772, v48
	;; [unrolled: 1-line block ×3, first 2 shown]
	v_mov_b32_e32 v67, v5
	v_fmac_f32_e32 v67, 0xbf955555, v53
	v_fma_f32 v53, v59, s5, -v55
	v_fma_f32 v55, v59, s6, -v44
	v_fmac_f32_e32 v44, 0x3d64c772, v48
	v_fma_f32 v48, v51, s4, -v64
	v_fmac_f32_e32 v64, 0x3eae86e6, v54
	v_mul_f32_e32 v66, 0x3f5ff5aa, v51
	v_add_f32_e32 v44, v44, v67
	v_add_f32_e32 v53, v53, v67
	v_fmac_f32_e32 v64, 0x3ee1c552, v45
	v_fmac_f32_e32 v48, 0x3ee1c552, v45
	v_fma_f32 v51, v54, s7, -v66
	v_add_f32_e32 v54, v55, v67
	v_add_f32_e32 v55, v64, v44
	v_sub_f32_e32 v66, v53, v48
	v_add_f32_e32 v48, v48, v53
	v_sub_f32_e32 v53, v44, v64
	v_mov_b32_e32 v44, 0x770
	v_fmac_f32_e32 v51, 0x3ee1c552, v45
	v_cndmask_b32_e64 v44, 0, v44, s[2:3]
	v_lshlrev_b32_e32 v45, 2, v95
	v_add3_u32 v44, 0, v44, v45
	v_add_u32_e32 v45, 0x400, v44
	ds_write2_b32 v44, v4, v49 offset1:68
	ds_write2_b32 v44, v50, v52 offset0:136 offset1:204
	ds_write2_b32 v45, v47, v46 offset0:16 offset1:84
	ds_write_b32 v44, v42 offset:1632
	v_mov_b32_e32 v42, 2
	v_mul_u32_u24_e32 v4, 0x770, v96
	v_lshlrev_b32_sdwa v42, v42, v97 dst_sel:DWORD dst_unused:UNUSED_PAD src0_sel:DWORD src1_sel:BYTE_0
	v_add3_u32 v46, 0, v4, v42
	v_fma_f32 v22, v70, v87, -v22
	v_fma_f32 v24, v69, v89, -v24
	;; [unrolled: 1-line block ×3, first 2 shown]
	v_add_f32_e32 v59, v51, v54
	v_sub_f32_e32 v51, v54, v51
	v_add_u32_e32 v47, 0x400, v46
	v_lshl_add_u32 v42, v98, 2, 0
	ds_write2_b32 v46, v5, v55 offset1:68
	ds_write2_b32 v46, v59, v66 offset0:136 offset1:204
	ds_write2_b32 v47, v48, v51 offset0:16 offset1:84
	ds_write_b32 v46, v53 offset:1632
	s_and_saveexec_b64 s[2:3], s[0:1]
	s_cbranch_execz .LBB0_21
; %bb.20:
	v_add_f32_e32 v4, v19, v28
	v_add_f32_e32 v5, v22, v24
	v_sub_f32_e32 v48, v4, v5
	v_mul_f32_e32 v48, 0x3f4a47b2, v48
	v_add_f32_e32 v49, v20, v26
	v_sub_f32_e32 v50, v5, v49
	v_mov_b32_e32 v52, v48
	v_mul_f32_e32 v51, 0x3d64c772, v50
	v_fmac_f32_e32 v52, 0x3d64c772, v50
	v_add_f32_e32 v50, v49, v4
	v_add_f32_e32 v5, v5, v50
	;; [unrolled: 1-line block ×3, first 2 shown]
	v_mov_b32_e32 v53, v50
	v_sub_f32_e32 v54, v25, v23
	v_sub_f32_e32 v59, v21, v27
	v_fmac_f32_e32 v53, 0xbf955555, v5
	v_sub_f32_e32 v64, v54, v59
	v_add_f32_e32 v5, v52, v53
	v_sub_f32_e32 v52, v18, v29
	v_mul_f32_e32 v64, 0xbf08b237, v64
	v_sub_f32_e32 v55, v52, v54
	v_mov_b32_e32 v65, v64
	v_add_f32_e32 v54, v54, v59
	v_sub_f32_e32 v4, v49, v4
	v_sub_f32_e32 v49, v59, v52
	v_fmac_f32_e32 v65, 0x3eae86e6, v55
	v_add_f32_e32 v54, v54, v52
	v_fma_f32 v48, v4, s6, -v48
	v_mul_f32_e32 v52, 0x3f5ff5aa, v49
	v_fma_f32 v49, v49, s4, -v64
	v_fma_f32 v4, v4, s5, -v51
	v_fmac_f32_e32 v65, 0x3ee1c552, v54
	v_fma_f32 v52, v55, s7, -v52
	v_fmac_f32_e32 v49, 0x3ee1c552, v54
	v_add_f32_e32 v4, v4, v53
	v_sub_f32_e32 v66, v5, v65
	v_add_f32_e32 v48, v48, v53
	v_fmac_f32_e32 v52, 0x3ee1c552, v54
	v_add_f32_e32 v51, v49, v4
	v_sub_f32_e32 v4, v4, v49
	v_add_f32_e32 v5, v65, v5
	v_add_u32_e32 v49, 0x1400, v42
	v_sub_f32_e32 v55, v48, v52
	v_add_f32_e32 v48, v52, v48
	ds_write2_b32 v49, v50, v5 offset0:148 offset1:216
	v_add_u32_e32 v5, 0x1800, v42
	ds_write2_b32 v5, v48, v4 offset0:28 offset1:96
	ds_write2_b32 v5, v51, v55 offset0:164 offset1:232
	ds_write_b32 v42, v66 offset:7344
.LBB0_21:
	s_or_b64 exec, exec, s[2:3]
	v_add_f32_e32 v4, v31, v39
	v_add_f32_e32 v31, v32, v35
	;; [unrolled: 1-line block ×4, first 2 shown]
	v_sub_f32_e32 v5, v36, v43
	v_sub_f32_e32 v32, v37, v41
	;; [unrolled: 1-line block ×6, first 2 shown]
	v_add_f32_e32 v33, v33, v35
	v_add_f32_e32 v37, v34, v32
	v_sub_f32_e32 v38, v34, v32
	v_sub_f32_e32 v32, v32, v5
	v_add_f32_e32 v35, v2, v33
	v_sub_f32_e32 v34, v5, v34
	v_add_f32_e32 v5, v37, v5
	v_mul_f32_e32 v2, 0x3f4a47b2, v4
	v_mul_f32_e32 v37, 0xbf08b237, v38
	;; [unrolled: 1-line block ×3, first 2 shown]
	v_mov_b32_e32 v39, v35
	v_mul_f32_e32 v4, 0x3d64c772, v31
	v_fmac_f32_e32 v39, 0xbf955555, v33
	v_fma_f32 v33, v36, s6, -v2
	v_fmac_f32_e32 v2, 0x3d64c772, v31
	v_fma_f32 v31, v32, s4, -v37
	;; [unrolled: 2-line block ×3, first 2 shown]
	v_fma_f32 v4, v36, s5, -v4
	v_add_f32_e32 v2, v2, v39
	v_add_f32_e32 v33, v33, v39
	v_fmac_f32_e32 v37, 0x3ee1c552, v5
	v_fmac_f32_e32 v32, 0x3ee1c552, v5
	v_add_f32_e32 v4, v4, v39
	v_fmac_f32_e32 v31, 0x3ee1c552, v5
	v_sub_f32_e32 v34, v2, v37
	v_sub_f32_e32 v36, v33, v32
	v_add_f32_e32 v32, v32, v33
	v_add_f32_e32 v33, v37, v2
	;; [unrolled: 1-line block ×5, first 2 shown]
	v_sub_f32_e32 v31, v4, v31
	v_sub_f32_e32 v4, v9, v7
	v_add_f32_e32 v7, v10, v12
	v_add_f32_e32 v9, v5, v2
	v_sub_f32_e32 v6, v11, v17
	v_sub_f32_e32 v8, v15, v13
	;; [unrolled: 1-line block ×5, first 2 shown]
	v_add_f32_e32 v7, v7, v9
	v_add_f32_e32 v11, v8, v6
	v_sub_f32_e32 v12, v8, v6
	v_sub_f32_e32 v6, v6, v4
	v_add_f32_e32 v37, v3, v7
	v_sub_f32_e32 v8, v4, v8
	v_add_f32_e32 v4, v11, v4
	v_mul_f32_e32 v2, 0x3f4a47b2, v2
	v_mul_f32_e32 v9, 0xbf08b237, v12
	;; [unrolled: 1-line block ×3, first 2 shown]
	v_mov_b32_e32 v12, v37
	v_mul_f32_e32 v3, 0x3d64c772, v5
	v_fmac_f32_e32 v12, 0xbf955555, v7
	v_fma_f32 v7, v10, s6, -v2
	v_fmac_f32_e32 v2, 0x3d64c772, v5
	v_fma_f32 v5, v6, s4, -v9
	v_fma_f32 v6, v8, s7, -v11
	v_fmac_f32_e32 v9, 0x3eae86e6, v8
	v_add_f32_e32 v7, v7, v12
	v_fmac_f32_e32 v6, 0x3ee1c552, v4
	v_fma_f32 v3, v10, s5, -v3
	v_add_f32_e32 v2, v2, v12
	v_fmac_f32_e32 v9, 0x3ee1c552, v4
	v_sub_f32_e32 v40, v7, v6
	v_add_f32_e32 v48, v6, v7
	v_add_u32_e32 v6, 0xe00, v57
	v_add_f32_e32 v3, v3, v12
	v_fmac_f32_e32 v5, 0x3ee1c552, v4
	v_sub_f32_e32 v39, v2, v9
	v_add_f32_e32 v49, v9, v2
	s_waitcnt lgkmcnt(0)
	s_barrier
	v_add_u32_e32 v4, 0x600, v57
	ds_read2_b32 v[8:9], v6 offset0:56 offset1:175
	v_add_u32_e32 v6, 0x1600, v57
	v_add_u32_e32 v10, 0x200, v57
	;; [unrolled: 1-line block ×5, first 2 shown]
	v_add_f32_e32 v41, v5, v3
	v_sub_f32_e32 v43, v3, v5
	ds_read2_b32 v[2:3], v57 offset1:119
	ds_read2_b32 v[4:5], v4 offset0:92 offset1:211
	ds_read2_b32 v[6:7], v6 offset0:20 offset1:139
	;; [unrolled: 1-line block ×6, first 2 shown]
	s_waitcnt lgkmcnt(0)
	s_barrier
	ds_write2_b32 v44, v35, v34 offset1:68
	ds_write2_b32 v44, v36, v38 offset0:136 offset1:204
	ds_write2_b32 v45, v31, v32 offset0:16 offset1:84
	ds_write_b32 v44, v33 offset:1632
	ds_write2_b32 v46, v37, v39 offset1:68
	ds_write2_b32 v46, v40, v41 offset0:136 offset1:204
	ds_write2_b32 v47, v43, v48 offset0:16 offset1:84
	ds_write_b32 v46, v49 offset:1632
	s_and_saveexec_b64 s[2:3], s[0:1]
	s_cbranch_execz .LBB0_23
; %bb.22:
	v_add_f32_e32 v18, v18, v29
	v_add_f32_e32 v21, v21, v27
	;; [unrolled: 1-line block ×3, first 2 shown]
	v_sub_f32_e32 v22, v24, v22
	v_add_f32_e32 v24, v21, v18
	v_sub_f32_e32 v20, v20, v26
	v_sub_f32_e32 v25, v21, v18
	;; [unrolled: 1-line block ×4, first 2 shown]
	v_add_f32_e32 v23, v23, v24
	v_sub_f32_e32 v19, v19, v28
	v_add_f32_e32 v26, v22, v20
	v_add_f32_e32 v24, v30, v23
	v_sub_f32_e32 v27, v22, v20
	v_sub_f32_e32 v22, v19, v22
	;; [unrolled: 1-line block ×3, first 2 shown]
	v_add_f32_e32 v19, v26, v19
	v_mul_f32_e32 v26, 0x3d64c772, v21
	v_mov_b32_e32 v29, v24
	s_mov_b32 s1, 0x3f3bfb3b
	v_mul_f32_e32 v18, 0x3f4a47b2, v18
	v_mul_f32_e32 v27, 0xbf08b237, v27
	s_mov_b32 s0, 0x3f5ff5aa
	v_fmac_f32_e32 v29, 0xbf955555, v23
	v_fma_f32 v23, v25, s1, -v26
	s_mov_b32 s1, 0xbf3bfb3b
	v_mul_f32_e32 v28, 0x3f5ff5aa, v20
	v_fma_f32 v25, v25, s1, -v18
	v_fmac_f32_e32 v18, 0x3d64c772, v21
	v_fma_f32 v20, v20, s0, -v27
	v_fmac_f32_e32 v27, 0x3eae86e6, v22
	s_mov_b32 s0, 0xbeae86e6
	v_fma_f32 v21, v22, s0, -v28
	v_add_f32_e32 v18, v18, v29
	v_add_f32_e32 v22, v23, v29
	v_fmac_f32_e32 v27, 0x3ee1c552, v19
	v_fmac_f32_e32 v20, 0x3ee1c552, v19
	v_add_f32_e32 v23, v25, v29
	v_fmac_f32_e32 v21, 0x3ee1c552, v19
	v_sub_f32_e32 v19, v18, v27
	v_add_f32_e32 v26, v20, v22
	v_sub_f32_e32 v20, v22, v20
	v_add_u32_e32 v22, 0x1400, v42
	v_sub_f32_e32 v25, v23, v21
	ds_write2_b32 v22, v24, v19 offset0:148 offset1:216
	v_add_u32_e32 v19, 0x1800, v42
	v_add_f32_e32 v21, v21, v23
	v_add_f32_e32 v18, v27, v18
	ds_write2_b32 v19, v25, v26 offset0:28 offset1:96
	ds_write2_b32 v19, v20, v21 offset0:164 offset1:232
	ds_write_b32 v42, v18 offset:7344
.LBB0_23:
	s_or_b64 exec, exec, s[2:3]
	s_waitcnt lgkmcnt(0)
	s_barrier
	s_and_saveexec_b64 s[0:1], vcc
	s_cbranch_execz .LBB0_25
; %bb.24:
	v_mul_u32_u24_e32 v18, 3, v58
	v_lshlrev_b32_e32 v22, 3, v18
	global_load_dwordx4 v[18:21], v22, s[8:9] offset:3672
	global_load_dwordx2 v[34:35], v22, s[8:9] offset:3688
	v_mov_b32_e32 v22, 0xfffffe9b
	v_mov_b32_e32 v27, 0
	v_mad_u32_u24 v26, v58, 3, v22
	v_lshlrev_b64 v[22:23], 3, v[26:27]
	v_mov_b32_e32 v31, s9
	v_add_co_u32_e32 v28, vcc, s8, v22
	v_addc_co_u32_e32 v29, vcc, v31, v23, vcc
	global_load_dwordx4 v[22:25], v[28:29], off offset:3672
	global_load_dwordx2 v[36:37], v[28:29], off offset:3688
	v_mov_b32_e32 v26, 0xfffffd36
	v_mad_u32_u24 v26, v58, 3, v26
	v_lshlrev_b64 v[26:27], 3, v[26:27]
	v_mul_u32_u24_e32 v48, 3, v56
	v_add_co_u32_e32 v30, vcc, s8, v26
	v_addc_co_u32_e32 v31, vcc, v31, v27, vcc
	global_load_dwordx4 v[26:29], v[30:31], off offset:3672
	global_load_dwordx2 v[38:39], v[30:31], off offset:3688
	v_add_u32_e32 v30, 0x200, v57
	v_add_u32_e32 v31, 0x1200, v57
	;; [unrolled: 1-line block ×4, first 2 shown]
	v_lshlrev_b32_e32 v50, 3, v48
	ds_read2_b32 v[40:41], v30 offset0:110 offset1:229
	ds_read2_b32 v[42:43], v31 offset0:38 offset1:157
	;; [unrolled: 1-line block ×4, first 2 shown]
	global_load_dwordx2 v[48:49], v50, s[8:9] offset:3688
	global_load_dwordx4 v[30:33], v50, s[8:9] offset:3672
	s_mov_b32 s3, 0x44d72045
	s_movk_i32 s2, 0x594
	s_waitcnt vmcnt(7)
	v_mul_f32_e32 v50, v15, v21
	s_waitcnt lgkmcnt(1)
	v_mul_f32_e32 v51, v45, v19
	s_waitcnt vmcnt(6) lgkmcnt(0)
	v_mul_f32_e32 v52, v47, v35
	v_mul_f32_e32 v21, v43, v21
	;; [unrolled: 1-line block ×4, first 2 shown]
	v_fmac_f32_e32 v50, v43, v20
	v_fma_f32 v13, v13, v18, -v51
	v_fma_f32 v17, v17, v34, -v52
	;; [unrolled: 1-line block ×3, first 2 shown]
	v_fmac_f32_e32 v19, v18, v45
	v_fmac_f32_e32 v35, v34, v47
	v_sub_f32_e32 v20, v41, v50
	v_sub_f32_e32 v21, v13, v17
	v_sub_f32_e32 v15, v11, v15
	v_sub_f32_e32 v34, v19, v35
	v_add_f32_e32 v18, v20, v21
	v_sub_f32_e32 v17, v15, v34
	v_fma_f32 v41, v41, 2.0, -v20
	v_fma_f32 v34, v19, 2.0, -v34
	;; [unrolled: 1-line block ×4, first 2 shown]
	s_waitcnt vmcnt(5)
	v_mul_f32_e32 v21, v14, v25
	v_mul_f32_e32 v43, v44, v23
	s_waitcnt vmcnt(4)
	v_mul_f32_e32 v45, v46, v37
	v_mul_f32_e32 v25, v42, v25
	;; [unrolled: 1-line block ×4, first 2 shown]
	v_fma_f32 v19, v15, 2.0, -v17
	v_sub_f32_e32 v35, v41, v34
	v_sub_f32_e32 v34, v11, v13
	v_fmac_f32_e32 v21, v42, v24
	v_fma_f32 v15, v12, v22, -v43
	v_fma_f32 v13, v16, v36, -v45
	v_fma_f32 v14, v14, v24, -v25
	v_fmac_f32_e32 v23, v22, v44
	v_fmac_f32_e32 v37, v36, v46
	v_sub_f32_e32 v16, v40, v21
	v_sub_f32_e32 v21, v15, v13
	;; [unrolled: 1-line block ×4, first 2 shown]
	v_add_f32_e32 v14, v16, v21
	v_fma_f32 v10, v10, 2.0, -v22
	v_fma_f32 v21, v15, 2.0, -v21
	v_sub_f32_e32 v13, v22, v24
	v_fma_f32 v25, v40, 2.0, -v16
	v_fma_f32 v23, v23, 2.0, -v24
	v_sub_f32_e32 v21, v10, v21
	v_fma_f32 v15, v22, 2.0, -v13
	v_sub_f32_e32 v22, v25, v23
	v_fma_f32 v23, v10, 2.0, -v21
	v_add_u32_e32 v10, 0xe00, v57
	v_fma_f32 v12, v41, 2.0, -v35
	v_fma_f32 v24, v25, 2.0, -v22
	ds_read2_b32 v[40:41], v10 offset0:56 offset1:175
	v_add_u32_e32 v25, 0x600, v57
	ds_read2_b32 v[36:37], v57 offset1:119
	ds_read2_b32 v[42:43], v25 offset0:92 offset1:211
	v_add_u32_e32 v25, 0x1600, v57
	ds_read2_b32 v[44:45], v25 offset0:20 offset1:139
	s_waitcnt vmcnt(3)
	v_mul_f32_e32 v10, v9, v29
	s_waitcnt lgkmcnt(3)
	v_fmac_f32_e32 v10, v41, v28
	s_waitcnt lgkmcnt(2)
	v_sub_f32_e32 v25, v37, v10
	s_waitcnt lgkmcnt(1)
	v_mul_f32_e32 v10, v43, v27
	v_fma_f32 v47, v5, v26, -v10
	s_waitcnt vmcnt(2) lgkmcnt(0)
	v_mul_f32_e32 v10, v45, v39
	v_fma_f32 v10, v7, v38, -v10
	v_mul_f32_e32 v5, v5, v27
	v_mul_f32_e32 v7, v7, v39
	v_sub_f32_e32 v50, v47, v10
	v_mul_f32_e32 v29, v41, v29
	v_fmac_f32_e32 v5, v26, v43
	v_fmac_f32_e32 v7, v38, v45
	v_add_f32_e32 v10, v25, v50
	v_fma_f32 v9, v9, v28, -v29
	v_sub_f32_e32 v7, v5, v7
	v_fma_f32 v46, v25, 2.0, -v10
	v_sub_f32_e32 v29, v3, v9
	v_fma_f32 v25, v37, 2.0, -v25
	v_fma_f32 v5, v5, 2.0, -v7
	v_sub_f32_e32 v26, v25, v5
	v_fma_f32 v3, v3, 2.0, -v29
	;; [unrolled: 3-line block ×3, first 2 shown]
	v_sub_f32_e32 v25, v3, v5
	s_waitcnt vmcnt(0)
	v_mul_f32_e32 v5, v42, v31
	v_fma_f32 v45, v29, 2.0, -v9
	v_fma_f32 v27, v3, 2.0, -v25
	v_mul_f32_e32 v3, v8, v33
	v_fma_f32 v37, v4, v30, -v5
	v_mul_f32_e32 v5, v44, v49
	v_mul_f32_e32 v29, v40, v33
	v_fmac_f32_e32 v3, v40, v32
	v_fma_f32 v5, v6, v48, -v5
	v_fma_f32 v8, v8, v32, -v29
	v_mul_f32_e32 v29, v4, v31
	v_mul_f32_e32 v4, v6, v49
	v_sub_f32_e32 v3, v36, v3
	v_sub_f32_e32 v38, v37, v5
	v_fmac_f32_e32 v29, v30, v42
	v_fmac_f32_e32 v4, v48, v44
	v_add_f32_e32 v5, v3, v38
	v_sub_f32_e32 v8, v2, v8
	v_sub_f32_e32 v30, v29, v4
	v_fma_f32 v7, v3, 2.0, -v5
	v_sub_f32_e32 v4, v8, v30
	v_fma_f32 v31, v36, 2.0, -v3
	v_fma_f32 v3, v29, 2.0, -v30
	v_mad_u64_u32 v[29:30], s[0:1], s12, v56, 0
	v_fma_f32 v6, v8, 2.0, -v4
	v_sub_f32_e32 v3, v31, v3
	v_fma_f32 v8, v2, 2.0, -v8
	v_mov_b32_e32 v2, v30
	v_fma_f32 v32, v31, 2.0, -v3
	v_mad_u64_u32 v[30:31], s[0:1], s13, v56, v[2:3]
	v_fma_f32 v2, v37, 2.0, -v38
	v_sub_f32_e32 v2, v8, v2
	v_fma_f32 v31, v8, 2.0, -v2
	v_mov_b32_e32 v8, s15
	v_add_co_u32_e32 v33, vcc, s14, v0
	v_addc_co_u32_e32 v39, vcc, v8, v1, vcc
	v_lshlrev_b64 v[0:1], 3, v[29:30]
	v_mad_u64_u32 v[29:30], s[0:1], s12, v63, 0
	v_add_u32_e32 v40, 0x3b8, v56
	v_add_co_u32_e32 v0, vcc, v33, v0
	v_mov_b32_e32 v8, v30
	v_mad_u64_u32 v[36:37], s[0:1], s13, v63, v[8:9]
	v_mad_u64_u32 v[37:38], s[0:1], s12, v40, 0
	v_addc_co_u32_e32 v1, vcc, v39, v1, vcc
	v_mov_b32_e32 v30, v36
	v_mov_b32_e32 v8, v38
	global_store_dwordx2 v[0:1], v[31:32], off
	v_lshlrev_b64 v[0:1], 3, v[29:30]
	v_mad_u64_u32 v[29:30], s[0:1], s13, v40, v[8:9]
	v_add_co_u32_e32 v0, vcc, v33, v0
	v_addc_co_u32_e32 v1, vcc, v39, v1, vcc
	v_mov_b32_e32 v38, v29
	v_add_u32_e32 v8, 0x594, v56
	global_store_dwordx2 v[0:1], v[6:7], off
	v_lshlrev_b64 v[0:1], 3, v[37:38]
	v_mad_u64_u32 v[6:7], s[0:1], s12, v8, 0
	v_add_co_u32_e32 v0, vcc, v33, v0
	v_addc_co_u32_e32 v1, vcc, v39, v1, vcc
	global_store_dwordx2 v[0:1], v[2:3], off
	v_mov_b32_e32 v0, v7
	v_mad_u64_u32 v[0:1], s[0:1], s13, v8, v[0:1]
	v_mad_u64_u32 v[1:2], s[0:1], s12, v62, 0
	v_mov_b32_e32 v7, v0
	v_lshlrev_b64 v[6:7], 3, v[6:7]
	v_mov_b32_e32 v0, v2
	v_mad_u64_u32 v[2:3], s[0:1], s13, v62, v[0:1]
	v_add_co_u32_e32 v6, vcc, v33, v6
	v_lshlrev_b64 v[0:1], 3, v[1:2]
	v_mad_u64_u32 v[2:3], s[0:1], s12, v61, 0
	v_addc_co_u32_e32 v7, vcc, v39, v7, vcc
	global_store_dwordx2 v[6:7], v[4:5], off
	v_mad_u64_u32 v[3:4], s[0:1], s13, v61, v[3:4]
	v_add_u32_e32 v6, 0x42f, v56
	v_mad_u64_u32 v[4:5], s[0:1], s12, v6, 0
	v_add_co_u32_e32 v0, vcc, v33, v0
	v_addc_co_u32_e32 v1, vcc, v39, v1, vcc
	global_store_dwordx2 v[0:1], v[27:28], off
	v_lshlrev_b64 v[0:1], 3, v[2:3]
	v_mov_b32_e32 v2, v5
	v_mad_u64_u32 v[2:3], s[0:1], s13, v6, v[2:3]
	v_add_co_u32_e32 v0, vcc, v33, v0
	v_addc_co_u32_e32 v1, vcc, v39, v1, vcc
	v_mov_b32_e32 v5, v2
	global_store_dwordx2 v[0:1], v[45:46], off
	v_lshlrev_b64 v[0:1], 3, v[4:5]
	v_add_u32_e32 v4, 0x60b, v56
	v_mad_u64_u32 v[2:3], s[0:1], s12, v4, 0
	v_add_co_u32_e32 v0, vcc, v33, v0
	v_mad_u64_u32 v[3:4], s[0:1], s13, v4, v[3:4]
	v_mul_hi_u32 v4, v60, s3
	v_addc_co_u32_e32 v1, vcc, v39, v1, vcc
	global_store_dwordx2 v[0:1], v[25:26], off
	v_lshlrev_b64 v[0:1], 3, v[2:3]
	v_lshrrev_b32_e32 v2, 7, v4
	v_mad_u32_u24 v6, v2, s2, v60
	v_mad_u64_u32 v[2:3], s[0:1], s12, v6, 0
	v_add_u32_e32 v7, 0x1dc, v6
	v_add_co_u32_e32 v0, vcc, v33, v0
	v_mad_u64_u32 v[3:4], s[0:1], s13, v6, v[3:4]
	v_mad_u64_u32 v[4:5], s[0:1], s12, v7, 0
	v_addc_co_u32_e32 v1, vcc, v39, v1, vcc
	global_store_dwordx2 v[0:1], v[9:10], off
	v_lshlrev_b64 v[0:1], 3, v[2:3]
	v_mov_b32_e32 v2, v5
	v_mad_u64_u32 v[2:3], s[0:1], s13, v7, v[2:3]
	v_add_co_u32_e32 v0, vcc, v33, v0
	v_addc_co_u32_e32 v1, vcc, v39, v1, vcc
	v_mov_b32_e32 v5, v2
	global_store_dwordx2 v[0:1], v[23:24], off
	v_lshlrev_b64 v[0:1], 3, v[4:5]
	v_add_u32_e32 v4, 0x3b8, v6
	v_mad_u64_u32 v[2:3], s[0:1], s12, v4, 0
	v_add_u32_e32 v6, 0x594, v6
	v_add_co_u32_e32 v0, vcc, v33, v0
	v_mad_u64_u32 v[3:4], s[0:1], s13, v4, v[3:4]
	v_mad_u64_u32 v[4:5], s[0:1], s12, v6, 0
	v_fma_f32 v16, v16, 2.0, -v14
	v_addc_co_u32_e32 v1, vcc, v39, v1, vcc
	global_store_dwordx2 v[0:1], v[15:16], off
	v_lshlrev_b64 v[0:1], 3, v[2:3]
	v_mov_b32_e32 v2, v5
	v_mad_u64_u32 v[2:3], s[0:1], s13, v6, v[2:3]
	v_mul_hi_u32 v3, v58, s3
	v_add_co_u32_e32 v0, vcc, v33, v0
	v_mov_b32_e32 v5, v2
	v_lshrrev_b32_e32 v2, 7, v3
	v_mad_u32_u24 v6, v2, s2, v58
	v_mad_u64_u32 v[2:3], s[0:1], s12, v6, 0
	v_addc_co_u32_e32 v1, vcc, v39, v1, vcc
	global_store_dwordx2 v[0:1], v[21:22], off
	v_lshlrev_b64 v[0:1], 3, v[4:5]
	v_mad_u64_u32 v[3:4], s[0:1], s13, v6, v[3:4]
	v_add_u32_e32 v7, 0x1dc, v6
	v_mad_u64_u32 v[4:5], s[0:1], s12, v7, 0
	v_add_co_u32_e32 v0, vcc, v33, v0
	v_addc_co_u32_e32 v1, vcc, v39, v1, vcc
	global_store_dwordx2 v[0:1], v[13:14], off
	v_lshlrev_b64 v[0:1], 3, v[2:3]
	v_mov_b32_e32 v2, v5
	v_mad_u64_u32 v[2:3], s[0:1], s13, v7, v[2:3]
	v_add_co_u32_e32 v0, vcc, v33, v0
	v_fma_f32 v11, v11, 2.0, -v34
	v_addc_co_u32_e32 v1, vcc, v39, v1, vcc
	v_mov_b32_e32 v5, v2
	global_store_dwordx2 v[0:1], v[11:12], off
	v_lshlrev_b64 v[0:1], 3, v[4:5]
	v_add_u32_e32 v4, 0x3b8, v6
	v_mad_u64_u32 v[2:3], s[0:1], s12, v4, 0
	v_add_u32_e32 v6, 0x594, v6
	v_add_co_u32_e32 v0, vcc, v33, v0
	v_mad_u64_u32 v[3:4], s[0:1], s13, v4, v[3:4]
	v_mad_u64_u32 v[4:5], s[0:1], s12, v6, 0
	v_fma_f32 v20, v20, 2.0, -v18
	v_addc_co_u32_e32 v1, vcc, v39, v1, vcc
	global_store_dwordx2 v[0:1], v[19:20], off
	v_lshlrev_b64 v[0:1], 3, v[2:3]
	v_mov_b32_e32 v2, v5
	v_mad_u64_u32 v[2:3], s[0:1], s13, v6, v[2:3]
	v_add_co_u32_e32 v0, vcc, v33, v0
	v_addc_co_u32_e32 v1, vcc, v39, v1, vcc
	v_mov_b32_e32 v5, v2
	global_store_dwordx2 v[0:1], v[34:35], off
	v_lshlrev_b64 v[0:1], 3, v[4:5]
	v_add_co_u32_e32 v0, vcc, v33, v0
	v_addc_co_u32_e32 v1, vcc, v39, v1, vcc
	global_store_dwordx2 v[0:1], v[17:18], off
.LBB0_25:
	s_endpgm
	.section	.rodata,"a",@progbits
	.p2align	6, 0x0
	.amdhsa_kernel fft_rtc_fwd_len1904_factors_17_2_2_7_4_wgs_119_tpt_119_halfLds_sp_ip_CI_sbrr_dirReg
		.amdhsa_group_segment_fixed_size 0
		.amdhsa_private_segment_fixed_size 0
		.amdhsa_kernarg_size 88
		.amdhsa_user_sgpr_count 6
		.amdhsa_user_sgpr_private_segment_buffer 1
		.amdhsa_user_sgpr_dispatch_ptr 0
		.amdhsa_user_sgpr_queue_ptr 0
		.amdhsa_user_sgpr_kernarg_segment_ptr 1
		.amdhsa_user_sgpr_dispatch_id 0
		.amdhsa_user_sgpr_flat_scratch_init 0
		.amdhsa_user_sgpr_private_segment_size 0
		.amdhsa_uses_dynamic_stack 0
		.amdhsa_system_sgpr_private_segment_wavefront_offset 0
		.amdhsa_system_sgpr_workgroup_id_x 1
		.amdhsa_system_sgpr_workgroup_id_y 0
		.amdhsa_system_sgpr_workgroup_id_z 0
		.amdhsa_system_sgpr_workgroup_info 0
		.amdhsa_system_vgpr_workitem_id 0
		.amdhsa_next_free_vgpr 99
		.amdhsa_next_free_sgpr 24
		.amdhsa_reserve_vcc 1
		.amdhsa_reserve_flat_scratch 0
		.amdhsa_float_round_mode_32 0
		.amdhsa_float_round_mode_16_64 0
		.amdhsa_float_denorm_mode_32 3
		.amdhsa_float_denorm_mode_16_64 3
		.amdhsa_dx10_clamp 1
		.amdhsa_ieee_mode 1
		.amdhsa_fp16_overflow 0
		.amdhsa_exception_fp_ieee_invalid_op 0
		.amdhsa_exception_fp_denorm_src 0
		.amdhsa_exception_fp_ieee_div_zero 0
		.amdhsa_exception_fp_ieee_overflow 0
		.amdhsa_exception_fp_ieee_underflow 0
		.amdhsa_exception_fp_ieee_inexact 0
		.amdhsa_exception_int_div_zero 0
	.end_amdhsa_kernel
	.text
.Lfunc_end0:
	.size	fft_rtc_fwd_len1904_factors_17_2_2_7_4_wgs_119_tpt_119_halfLds_sp_ip_CI_sbrr_dirReg, .Lfunc_end0-fft_rtc_fwd_len1904_factors_17_2_2_7_4_wgs_119_tpt_119_halfLds_sp_ip_CI_sbrr_dirReg
                                        ; -- End function
	.section	.AMDGPU.csdata,"",@progbits
; Kernel info:
; codeLenInByte = 14052
; NumSgprs: 28
; NumVgprs: 99
; ScratchSize: 0
; MemoryBound: 0
; FloatMode: 240
; IeeeMode: 1
; LDSByteSize: 0 bytes/workgroup (compile time only)
; SGPRBlocks: 3
; VGPRBlocks: 24
; NumSGPRsForWavesPerEU: 28
; NumVGPRsForWavesPerEU: 99
; Occupancy: 2
; WaveLimiterHint : 1
; COMPUTE_PGM_RSRC2:SCRATCH_EN: 0
; COMPUTE_PGM_RSRC2:USER_SGPR: 6
; COMPUTE_PGM_RSRC2:TRAP_HANDLER: 0
; COMPUTE_PGM_RSRC2:TGID_X_EN: 1
; COMPUTE_PGM_RSRC2:TGID_Y_EN: 0
; COMPUTE_PGM_RSRC2:TGID_Z_EN: 0
; COMPUTE_PGM_RSRC2:TIDIG_COMP_CNT: 0
	.type	__hip_cuid_2d937536e3308aa2,@object ; @__hip_cuid_2d937536e3308aa2
	.section	.bss,"aw",@nobits
	.globl	__hip_cuid_2d937536e3308aa2
__hip_cuid_2d937536e3308aa2:
	.byte	0                               ; 0x0
	.size	__hip_cuid_2d937536e3308aa2, 1

	.ident	"AMD clang version 19.0.0git (https://github.com/RadeonOpenCompute/llvm-project roc-6.4.0 25133 c7fe45cf4b819c5991fe208aaa96edf142730f1d)"
	.section	".note.GNU-stack","",@progbits
	.addrsig
	.addrsig_sym __hip_cuid_2d937536e3308aa2
	.amdgpu_metadata
---
amdhsa.kernels:
  - .args:
      - .actual_access:  read_only
        .address_space:  global
        .offset:         0
        .size:           8
        .value_kind:     global_buffer
      - .offset:         8
        .size:           8
        .value_kind:     by_value
      - .actual_access:  read_only
        .address_space:  global
        .offset:         16
        .size:           8
        .value_kind:     global_buffer
      - .actual_access:  read_only
        .address_space:  global
        .offset:         24
        .size:           8
        .value_kind:     global_buffer
      - .offset:         32
        .size:           8
        .value_kind:     by_value
      - .actual_access:  read_only
        .address_space:  global
        .offset:         40
        .size:           8
        .value_kind:     global_buffer
      - .actual_access:  read_only
        .address_space:  global
        .offset:         48
        .size:           8
        .value_kind:     global_buffer
      - .offset:         56
        .size:           4
        .value_kind:     by_value
      - .actual_access:  read_only
        .address_space:  global
        .offset:         64
        .size:           8
        .value_kind:     global_buffer
      - .actual_access:  read_only
        .address_space:  global
        .offset:         72
        .size:           8
        .value_kind:     global_buffer
      - .address_space:  global
        .offset:         80
        .size:           8
        .value_kind:     global_buffer
    .group_segment_fixed_size: 0
    .kernarg_segment_align: 8
    .kernarg_segment_size: 88
    .language:       OpenCL C
    .language_version:
      - 2
      - 0
    .max_flat_workgroup_size: 119
    .name:           fft_rtc_fwd_len1904_factors_17_2_2_7_4_wgs_119_tpt_119_halfLds_sp_ip_CI_sbrr_dirReg
    .private_segment_fixed_size: 0
    .sgpr_count:     28
    .sgpr_spill_count: 0
    .symbol:         fft_rtc_fwd_len1904_factors_17_2_2_7_4_wgs_119_tpt_119_halfLds_sp_ip_CI_sbrr_dirReg.kd
    .uniform_work_group_size: 1
    .uses_dynamic_stack: false
    .vgpr_count:     99
    .vgpr_spill_count: 0
    .wavefront_size: 64
amdhsa.target:   amdgcn-amd-amdhsa--gfx906
amdhsa.version:
  - 1
  - 2
...

	.end_amdgpu_metadata
